;; amdgpu-corpus repo=ROCm/rocFFT kind=compiled arch=gfx1030 opt=O3
	.text
	.amdgcn_target "amdgcn-amd-amdhsa--gfx1030"
	.amdhsa_code_object_version 6
	.protected	bluestein_single_back_len2250_dim1_dp_op_CI_CI ; -- Begin function bluestein_single_back_len2250_dim1_dp_op_CI_CI
	.globl	bluestein_single_back_len2250_dim1_dp_op_CI_CI
	.p2align	8
	.type	bluestein_single_back_len2250_dim1_dp_op_CI_CI,@function
bluestein_single_back_len2250_dim1_dp_op_CI_CI: ; @bluestein_single_back_len2250_dim1_dp_op_CI_CI
; %bb.0:
	s_load_dwordx4 s[12:15], s[4:5], 0x28
	v_mul_u32_u24_e32 v1, 0x2d9, v0
	s_mov_b64 s[26:27], s[2:3]
	s_mov_b64 s[24:25], s[0:1]
	v_mov_b32_e32 v8, 0
	s_add_u32 s24, s24, s7
	v_lshrrev_b32_e32 v1, 16, v1
	s_addc_u32 s25, s25, 0
	s_mov_b32 s0, exec_lo
	v_add_nc_u32_e32 v7, s6, v1
	s_waitcnt lgkmcnt(0)
	v_cmpx_gt_u64_e64 s[12:13], v[7:8]
	s_cbranch_execz .LBB0_31
; %bb.1:
	s_clause 0x1
	s_load_dwordx4 s[0:3], s[4:5], 0x18
	s_load_dwordx2 s[6:7], s[4:5], 0x0
	v_mul_lo_u16 v1, 0x5a, v1
	v_mov_b32_e32 v8, v7
	v_sub_nc_u16 v2, v0, v1
	v_and_b32_e32 v10, 0xffff, v2
	v_lshlrev_b32_e32 v148, 4, v10
	s_waitcnt lgkmcnt(0)
	s_load_dwordx4 s[8:11], s[0:1], 0x0
	buffer_store_dword v8, off, s[24:27], 0 offset:328 ; 4-byte Folded Spill
	buffer_store_dword v9, off, s[24:27], 0 offset:332 ; 4-byte Folded Spill
	v_add_co_u32 v149, s0, s6, v148
	v_add_co_ci_u32_e64 v77, null, s7, 0, s0
	buffer_store_dword v10, off, s[24:27], 0 ; 4-byte Folded Spill
	v_add_co_u32 v14, vcc_lo, 0x800, v149
	v_add_co_ci_u32_e32 v15, vcc_lo, 0, v77, vcc_lo
	v_add_co_u32 v12, vcc_lo, 0x1800, v149
	buffer_store_dword v14, off, s[24:27], 0 offset:40 ; 4-byte Folded Spill
	buffer_store_dword v15, off, s[24:27], 0 offset:44 ; 4-byte Folded Spill
	v_add_co_ci_u32_e32 v13, vcc_lo, 0, v77, vcc_lo
	v_add_co_u32 v0, vcc_lo, 0x2800, v149
	v_add_co_ci_u32_e32 v1, vcc_lo, 0, v77, vcc_lo
	v_add_co_u32 v63, vcc_lo, 0x3800, v149
	;; [unrolled: 2-line block ×4, first 2 shown]
	v_add_co_ci_u32_e32 v20, vcc_lo, 0, v77, vcc_lo
	s_waitcnt lgkmcnt(0)
	v_mad_u64_u32 v[3:4], null, s10, v7, 0
	v_mad_u64_u32 v[5:6], null, s8, v10, 0
	s_mul_i32 s1, s9, 0xe1
	s_mul_hi_u32 s10, s8, 0xe1
	s_mul_i32 s0, s8, 0xe1
	s_add_i32 s1, s10, s1
	s_lshl_b64 s[12:13], s[0:1], 4
	v_mad_u64_u32 v[7:8], null, s11, v7, v[4:5]
	v_mov_b32_e32 v4, v6
	v_add_co_u32 v8, vcc_lo, 0x6000, v149
	v_add_co_ci_u32_e32 v9, vcc_lo, 0, v77, vcc_lo
	v_mad_u64_u32 v[10:11], null, s9, v10, v[4:5]
	v_mov_b32_e32 v4, v7
	v_add_co_u32 v79, vcc_lo, 0x7000, v149
	v_add_co_ci_u32_e32 v80, vcc_lo, 0, v77, vcc_lo
	v_lshlrev_b64 v[3:4], 4, v[3:4]
	v_mov_b32_e32 v6, v10
	s_mul_hi_u32 s0, s8, 0xfffff871
	s_mul_i32 s1, s9, 0xfffff871
	s_sub_i32 s0, s0, s8
	v_lshlrev_b64 v[5:6], 4, v[5:6]
	v_add_co_u32 v3, vcc_lo, s14, v3
	v_add_co_ci_u32_e32 v4, vcc_lo, s15, v4, vcc_lo
	s_add_i32 s1, s0, s1
	v_add_co_u32 v3, vcc_lo, v3, v5
	v_add_co_ci_u32_e32 v4, vcc_lo, v4, v6, vcc_lo
	s_mul_i32 s0, s8, 0xfffff871
	v_add_co_u32 v10, vcc_lo, v3, s12
	v_add_co_ci_u32_e32 v11, vcc_lo, s13, v4, vcc_lo
	s_lshl_b64 s[0:1], s[0:1], 4
	global_load_dwordx4 v[135:138], v[14:15], off offset:1552
	buffer_store_dword v12, off, s[24:27], 0 offset:8 ; 4-byte Folded Spill
	buffer_store_dword v13, off, s[24:27], 0 offset:12 ; 4-byte Folded Spill
	s_clause 0x2
	global_load_dwordx4 v[123:126], v[63:64], off offset:64
	global_load_dwordx4 v[131:134], v[0:1], off offset:560
	;; [unrolled: 1-line block ×3, first 2 shown]
	buffer_store_dword v17, off, s[24:27], 0 offset:16 ; 4-byte Folded Spill
	buffer_store_dword v18, off, s[24:27], 0 offset:20 ; 4-byte Folded Spill
	v_add_co_u32 v12, vcc_lo, v10, s12
	v_add_co_ci_u32_e32 v13, vcc_lo, s13, v11, vcc_lo
	v_add_co_u32 v15, vcc_lo, v12, s12
	v_add_co_ci_u32_e32 v16, vcc_lo, s13, v13, vcc_lo
	global_load_dwordx4 v[119:122], v[17:18], off offset:1616
	buffer_store_dword v19, off, s[24:27], 0 offset:24 ; 4-byte Folded Spill
	buffer_store_dword v20, off, s[24:27], 0 offset:28 ; 4-byte Folded Spill
	s_clause 0x1
	global_load_dwordx4 v[111:114], v[8:9], off offset:624
	global_load_dwordx4 v[115:118], v[19:20], off offset:1120
	v_add_co_u32 v19, vcc_lo, v15, s12
	v_add_co_ci_u32_e32 v20, vcc_lo, s13, v16, vcc_lo
	s_clause 0x1
	global_load_dwordx4 v[3:6], v[3:4], off
	global_load_dwordx4 v[7:10], v[10:11], off
	v_add_co_u32 v23, vcc_lo, v19, s12
	v_add_co_ci_u32_e32 v24, vcc_lo, s13, v20, vcc_lo
	s_clause 0x1
	global_load_dwordx4 v[11:14], v[12:13], off
	global_load_dwordx4 v[15:18], v[15:16], off
	v_add_co_u32 v27, vcc_lo, v23, s12
	v_add_co_ci_u32_e32 v28, vcc_lo, s13, v24, vcc_lo
	v_add_co_u32 v31, vcc_lo, v27, s12
	v_add_co_ci_u32_e32 v32, vcc_lo, s13, v28, vcc_lo
	;; [unrolled: 2-line block ×3, first 2 shown]
	global_load_dwordx4 v[19:22], v[19:20], off
	global_load_dwordx4 v[23:26], v[23:24], off
	;; [unrolled: 1-line block ×5, first 2 shown]
	v_add_co_u32 v43, vcc_lo, v39, s12
	v_add_co_ci_u32_e32 v44, vcc_lo, s13, v40, vcc_lo
	global_load_dwordx4 v[139:142], v[79:80], off offset:128
	global_load_dwordx4 v[39:42], v[43:44], off
	v_add_co_u32 v43, vcc_lo, v43, s0
	v_add_co_ci_u32_e32 v44, vcc_lo, s1, v44, vcc_lo
	v_add_co_u32 v45, vcc_lo, 0x7800, v149
	v_add_co_ci_u32_e32 v46, vcc_lo, 0, v77, vcc_lo
	buffer_store_dword v45, off, s[24:27], 0 offset:32 ; 4-byte Folded Spill
	buffer_store_dword v46, off, s[24:27], 0 offset:36 ; 4-byte Folded Spill
	v_add_co_u32 v51, vcc_lo, v43, s12
	v_add_co_ci_u32_e32 v52, vcc_lo, s13, v44, vcc_lo
	v_add_co_u32 v53, vcc_lo, 0x1000, v149
	v_add_co_ci_u32_e32 v54, vcc_lo, 0, v77, vcc_lo
	global_load_dwordx4 v[150:153], v[45:46], off offset:1680
	global_load_dwordx4 v[43:46], v[43:44], off
	s_clause 0x1
	global_load_dwordx4 v[190:193], v148, s[6:7]
	global_load_dwordx4 v[143:146], v148, s[6:7] offset:1440
	global_load_dwordx4 v[47:50], v[51:52], off
	v_add_co_u32 v51, vcc_lo, v51, s12
	v_add_co_ci_u32_e32 v52, vcc_lo, s13, v52, vcc_lo
	global_load_dwordx4 v[154:157], v[53:54], off offset:944
	v_add_co_u32 v55, vcc_lo, v51, s12
	v_add_co_ci_u32_e32 v56, vcc_lo, s13, v52, vcc_lo
	v_add_co_u32 v57, vcc_lo, 0x2000, v149
	v_add_co_ci_u32_e32 v58, vcc_lo, 0, v77, vcc_lo
	global_load_dwordx4 v[51:54], v[51:52], off
	buffer_store_dword v57, off, s[24:27], 0 offset:48 ; 4-byte Folded Spill
	buffer_store_dword v58, off, s[24:27], 0 offset:52 ; 4-byte Folded Spill
	v_add_co_u32 v65, vcc_lo, v55, s12
	v_add_co_ci_u32_e32 v66, vcc_lo, s13, v56, vcc_lo
	s_waitcnt vmcnt(16)
	v_mul_f64 v[87:88], v[9:10], v[137:138]
	v_mul_f64 v[89:90], v[7:8], v[137:138]
	s_waitcnt vmcnt(15)
	v_mul_f64 v[91:92], v[13:14], v[129:130]
	s_waitcnt vmcnt(14)
	;; [unrolled: 2-line block ×5, first 2 shown]
	v_mul_f64 v[107:108], v[29:30], v[117:118]
	v_mul_f64 v[93:94], v[11:12], v[129:130]
	;; [unrolled: 1-line block ×6, first 2 shown]
	s_load_dwordx2 s[6:7], s[4:5], 0x38
	global_load_dwordx4 v[166:169], v[57:58], off offset:448
	global_load_dwordx4 v[55:58], v[55:56], off
	global_load_dwordx4 v[162:165], v[0:1], off offset:2000
	global_load_dwordx4 v[59:62], v[65:66], off
	global_load_dwordx4 v[158:161], v[63:64], off offset:1504
	v_add_co_u32 v0, vcc_lo, v65, s12
	v_add_co_ci_u32_e32 v1, vcc_lo, s13, v66, vcc_lo
	v_add_co_u32 v67, vcc_lo, 0x4800, v149
	v_add_co_ci_u32_e32 v68, vcc_lo, 0, v77, vcc_lo
	;; [unrolled: 2-line block ×5, first 2 shown]
	global_load_dwordx4 v[63:66], v[0:1], off
	global_load_dwordx4 v[174:177], v[67:68], off offset:1008
	global_load_dwordx4 v[67:70], v[69:70], off
	buffer_store_dword v71, off, s[24:27], 0 offset:56 ; 4-byte Folded Spill
	buffer_store_dword v72, off, s[24:27], 0 offset:60 ; 4-byte Folded Spill
	v_add_co_u32 v83, vcc_lo, 0x6800, v149
	v_add_co_ci_u32_e32 v84, vcc_lo, 0, v77, vcc_lo
	s_waitcnt vmcnt(12)
	v_mul_f64 v[85:86], v[3:4], v[192:193]
	v_fma_f64 v[7:8], v[7:8], v[135:136], v[87:88]
	v_mul_f64 v[87:88], v[37:38], v[141:142]
	v_fma_f64 v[11:12], v[11:12], v[127:128], v[91:92]
	v_fma_f64 v[15:16], v[15:16], v[131:132], v[95:96]
	;; [unrolled: 1-line block ×5, first 2 shown]
	v_mul_f64 v[91:92], v[41:42], v[152:153]
	s_waitcnt vmcnt(11)
	v_mul_f64 v[95:96], v[45:46], v[145:146]
	s_waitcnt vmcnt(9)
	v_mul_f64 v[99:100], v[49:50], v[156:157]
	global_load_dwordx4 v[170:173], v[71:72], off offset:512
	global_load_dwordx4 v[71:74], v[75:76], off
	buffer_store_dword v77, off, s[24:27], 0 offset:4 ; 4-byte Folded Spill
	buffer_store_dword v83, off, s[24:27], 0 offset:64 ; 4-byte Folded Spill
	;; [unrolled: 1-line block ×3, first 2 shown]
	v_add_co_u32 v75, vcc_lo, v75, s12
	v_add_co_ci_u32_e32 v76, vcc_lo, s13, v76, vcc_lo
	v_add_co_u32 v81, vcc_lo, 0x8000, v149
	v_add_co_ci_u32_e32 v82, vcc_lo, 0, v77, vcc_lo
	;; [unrolled: 2-line block ×3, first 2 shown]
	s_waitcnt vmcnt(5)
	v_mul_f64 v[103:104], v[61:62], v[160:161]
	s_waitcnt vmcnt(3)
	v_mul_f64 v[107:108], v[65:66], v[176:177]
	v_cmp_gt_u16_e32 vcc_lo, 45, v2
	global_load_dwordx4 v[178:181], v[83:84], off offset:16
	global_load_dwordx4 v[75:78], v[75:76], off
	s_clause 0x1
	global_load_dwordx4 v[182:185], v[79:80], off offset:1568
	global_load_dwordx4 v[186:189], v[81:82], off offset:1072
	global_load_dwordx4 v[79:82], v[0:1], off
	v_mul_f64 v[83:84], v[5:6], v[192:193]
	s_load_dwordx4 s[8:11], s[2:3], 0x0
	v_fma_f64 v[3:4], v[3:4], v[190:191], v[83:84]
	buffer_store_dword v190, off, s[24:27], 0 offset:384 ; 4-byte Folded Spill
	buffer_store_dword v191, off, s[24:27], 0 offset:388 ; 4-byte Folded Spill
	;; [unrolled: 1-line block ×8, first 2 shown]
	v_mul_f64 v[83:84], v[33:34], v[113:114]
	buffer_store_dword v127, off, s[24:27], 0 offset:136 ; 4-byte Folded Spill
	buffer_store_dword v128, off, s[24:27], 0 offset:140 ; 4-byte Folded Spill
	;; [unrolled: 1-line block ×20, first 2 shown]
	s_waitcnt vmcnt(4)
	v_mul_f64 v[117:118], v[71:72], v[180:181]
	s_waitcnt vmcnt(2)
	v_mul_f64 v[121:122], v[75:76], v[184:185]
	;; [unrolled: 2-line block ×3, first 2 shown]
	v_fma_f64 v[5:6], v[5:6], v[190:191], -v[85:86]
	v_mul_f64 v[85:86], v[31:32], v[113:114]
	v_fma_f64 v[31:32], v[31:32], v[111:112], v[83:84]
	buffer_store_dword v111, off, s[24:27], 0 offset:72 ; 4-byte Folded Spill
	buffer_store_dword v112, off, s[24:27], 0 offset:76 ; 4-byte Folded Spill
	;; [unrolled: 1-line block ×4, first 2 shown]
	v_fma_f64 v[9:10], v[9:10], v[135:136], -v[89:90]
	v_mul_f64 v[89:90], v[35:36], v[141:142]
	v_fma_f64 v[35:36], v[35:36], v[139:140], v[87:88]
	buffer_store_dword v139, off, s[24:27], 0 offset:184 ; 4-byte Folded Spill
	buffer_store_dword v140, off, s[24:27], 0 offset:188 ; 4-byte Folded Spill
	;; [unrolled: 1-line block ×4, first 2 shown]
	v_mul_f64 v[83:84], v[53:54], v[168:169]
	v_mul_f64 v[87:88], v[57:58], v[164:165]
	v_fma_f64 v[29:30], v[29:30], v[115:116], -v[109:110]
	v_mul_f64 v[115:116], v[73:74], v[180:181]
	v_fma_f64 v[25:26], v[25:26], v[119:120], -v[105:106]
	;; [unrolled: 2-line block ×4, first 2 shown]
	v_fma_f64 v[17:18], v[17:18], v[131:132], -v[97:98]
	v_mul_f64 v[93:94], v[39:40], v[152:153]
	v_mul_f64 v[97:98], v[43:44], v[145:146]
	;; [unrolled: 1-line block ×6, first 2 shown]
	v_fma_f64 v[39:40], v[39:40], v[150:151], v[91:92]
	buffer_store_dword v150, off, s[24:27], 0 offset:216 ; 4-byte Folded Spill
	buffer_store_dword v151, off, s[24:27], 0 offset:220 ; 4-byte Folded Spill
	buffer_store_dword v152, off, s[24:27], 0 offset:224 ; 4-byte Folded Spill
	buffer_store_dword v153, off, s[24:27], 0 offset:228 ; 4-byte Folded Spill
	v_fma_f64 v[43:44], v[43:44], v[143:144], v[95:96]
	buffer_store_dword v143, off, s[24:27], 0 offset:200 ; 4-byte Folded Spill
	buffer_store_dword v144, off, s[24:27], 0 offset:204 ; 4-byte Folded Spill
	buffer_store_dword v145, off, s[24:27], 0 offset:208 ; 4-byte Folded Spill
	buffer_store_dword v146, off, s[24:27], 0 offset:212 ; 4-byte Folded Spill
	;; [unrolled: 5-line block ×3, first 2 shown]
	v_fma_f64 v[59:60], v[59:60], v[158:159], v[103:104]
	v_fma_f64 v[63:64], v[63:64], v[174:175], v[107:108]
	;; [unrolled: 1-line block ×5, first 2 shown]
	v_fma_f64 v[33:34], v[33:34], v[111:112], -v[85:86]
	v_mul_f64 v[111:112], v[69:70], v[172:173]
	v_mul_f64 v[85:86], v[51:52], v[168:169]
	v_fma_f64 v[51:52], v[51:52], v[166:167], v[83:84]
	v_fma_f64 v[37:38], v[37:38], v[139:140], -v[89:90]
	v_mul_f64 v[89:90], v[55:56], v[164:165]
	buffer_store_dword v166, off, s[24:27], 0 offset:280 ; 4-byte Folded Spill
	buffer_store_dword v167, off, s[24:27], 0 offset:284 ; 4-byte Folded Spill
	;; [unrolled: 1-line block ×4, first 2 shown]
	v_fma_f64 v[55:56], v[55:56], v[162:163], v[87:88]
	buffer_store_dword v162, off, s[24:27], 0 offset:264 ; 4-byte Folded Spill
	buffer_store_dword v163, off, s[24:27], 0 offset:268 ; 4-byte Folded Spill
	;; [unrolled: 1-line block ×12, first 2 shown]
	v_fma_f64 v[41:42], v[41:42], v[150:151], -v[93:94]
	v_fma_f64 v[67:68], v[67:68], v[170:171], v[111:112]
	buffer_store_dword v170, off, s[24:27], 0 offset:296 ; 4-byte Folded Spill
	buffer_store_dword v171, off, s[24:27], 0 offset:300 ; 4-byte Folded Spill
	;; [unrolled: 1-line block ×16, first 2 shown]
	v_fma_f64 v[45:46], v[45:46], v[143:144], -v[97:98]
	v_fma_f64 v[49:50], v[49:50], v[154:155], -v[101:102]
	v_fma_f64 v[53:54], v[53:54], v[166:167], -v[85:86]
	v_fma_f64 v[57:58], v[57:58], v[162:163], -v[89:90]
	v_fma_f64 v[61:62], v[61:62], v[158:159], -v[105:106]
	v_fma_f64 v[65:66], v[65:66], v[174:175], -v[109:110]
	ds_write_b128 v148, v[3:6]
	ds_write_b128 v148, v[7:10] offset:3600
	ds_write_b128 v148, v[11:14] offset:7200
	;; [unrolled: 1-line block ×15, first 2 shown]
	v_fma_f64 v[69:70], v[69:70], v[170:171], -v[113:114]
	v_fma_f64 v[73:74], v[73:74], v[178:179], -v[117:118]
	v_fma_f64 v[77:78], v[77:78], v[182:183], -v[121:122]
	v_fma_f64 v[81:82], v[81:82], v[186:187], -v[125:126]
	ds_write_b128 v148, v[67:70] offset:23040
	ds_write_b128 v148, v[71:74] offset:26640
	;; [unrolled: 1-line block ×4, first 2 shown]
	s_and_saveexec_b32 s2, vcc_lo
	s_cbranch_execz .LBB0_3
; %bb.2:
	v_add_co_u32 v4, s0, v0, s0
	v_add_co_ci_u32_e64 v5, s0, s1, v1, s0
	s_clause 0x1
	buffer_load_dword v0, off, s[24:27], 0 offset:40
	buffer_load_dword v1, off, s[24:27], 0 offset:44
	v_add_co_u32 v8, s0, v4, s12
	v_add_co_ci_u32_e64 v9, s0, s13, v5, s0
	global_load_dwordx4 v[4:7], v[4:5], off
	v_add_co_u32 v12, s0, v8, s12
	v_add_co_ci_u32_e64 v13, s0, s13, v9, s0
	v_add_co_u32 v28, s0, v12, s12
	v_add_co_ci_u32_e64 v29, s0, s13, v13, s0
	v_add_co_u32 v30, s0, 0x3000, v149
	s_waitcnt vmcnt(1)
	global_load_dwordx4 v[0:3], v[0:1], off offset:832
	global_load_dwordx4 v[8:11], v[8:9], off
	global_load_dwordx4 v[12:15], v[12:13], off
	s_clause 0x1
	buffer_load_dword v16, off, s[24:27], 0 offset:8
	buffer_load_dword v17, off, s[24:27], 0 offset:12
	s_waitcnt vmcnt(4)
	v_mul_f64 v[80:81], v[6:7], v[2:3]
	v_mul_f64 v[82:83], v[4:5], v[2:3]
	s_waitcnt vmcnt(0)
	global_load_dwordx4 v[16:19], v[16:17], off offset:336
	s_clause 0x1
	buffer_load_dword v20, off, s[24:27], 0 offset:48
	buffer_load_dword v21, off, s[24:27], 0 offset:52
	s_waitcnt vmcnt(0)
	global_load_dwordx4 v[20:23], v[20:21], off offset:1888
	global_load_dwordx4 v[24:27], v[28:29], off
	buffer_load_dword v62, off, s[24:27], 0 offset:4 ; 4-byte Folded Reload
	v_mul_f64 v[84:85], v[10:11], v[18:19]
	v_mul_f64 v[18:19], v[8:9], v[18:19]
	v_fma_f64 v[2:3], v[4:5], v[0:1], v[80:81]
	v_fma_f64 v[4:5], v[6:7], v[0:1], -v[82:83]
	v_fma_f64 v[6:7], v[8:9], v[16:17], v[84:85]
	v_fma_f64 v[8:9], v[10:11], v[16:17], -v[18:19]
	s_waitcnt vmcnt(2)
	v_mul_f64 v[86:87], v[14:15], v[22:23]
	v_mul_f64 v[22:23], v[12:13], v[22:23]
	s_waitcnt vmcnt(0)
	v_add_co_ci_u32_e64 v31, s0, 0, v62, s0
	v_add_co_u32 v32, s0, v28, s12
	v_add_co_ci_u32_e64 v33, s0, s13, v29, s0
	global_load_dwordx4 v[28:31], v[30:31], off offset:1392
	v_add_co_u32 v36, s0, v32, s12
	v_add_co_ci_u32_e64 v37, s0, s13, v33, s0
	global_load_dwordx4 v[32:35], v[32:33], off
	v_add_co_u32 v48, s0, v36, s12
	v_add_co_ci_u32_e64 v49, s0, s13, v37, s0
	global_load_dwordx4 v[36:39], v[36:37], off
	s_clause 0x1
	buffer_load_dword v40, off, s[24:27], 0 offset:16
	buffer_load_dword v41, off, s[24:27], 0 offset:20
	v_add_co_u32 v60, s0, v48, s12
	v_add_co_ci_u32_e64 v61, s0, s13, v49, s0
	v_fma_f64 v[10:11], v[12:13], v[20:21], v[86:87]
	v_add_co_u32 v64, s0, v60, s12
	v_add_co_ci_u32_e64 v65, s0, s13, v61, s0
	v_add_co_u32 v72, s0, 0x8800, v149
	v_add_co_ci_u32_e64 v73, s0, 0, v62, s0
	;; [unrolled: 2-line block ×3, first 2 shown]
	v_fma_f64 v[12:13], v[14:15], v[20:21], -v[22:23]
	s_waitcnt vmcnt(4)
	v_mul_f64 v[88:89], v[26:27], v[30:31]
	v_mul_f64 v[30:31], v[24:25], v[30:31]
	s_waitcnt vmcnt(0)
	global_load_dwordx4 v[40:43], v[40:41], off offset:896
	s_clause 0x1
	buffer_load_dword v44, off, s[24:27], 0 offset:24
	buffer_load_dword v45, off, s[24:27], 0 offset:28
	s_waitcnt vmcnt(0)
	global_load_dwordx4 v[44:47], v[44:45], off offset:400
	global_load_dwordx4 v[48:51], v[48:49], off
	s_clause 0x1
	buffer_load_dword v52, off, s[24:27], 0 offset:56
	buffer_load_dword v53, off, s[24:27], 0 offset:60
	v_mul_f64 v[90:91], v[34:35], v[42:43]
	v_mul_f64 v[42:43], v[32:33], v[42:43]
	v_fma_f64 v[14:15], v[24:25], v[28:29], v[88:89]
	v_fma_f64 v[16:17], v[26:27], v[28:29], -v[30:31]
	s_waitcnt vmcnt(0)
	global_load_dwordx4 v[52:55], v[52:53], off offset:1952
	global_load_dwordx4 v[56:59], v[60:61], off
	s_clause 0x1
	buffer_load_dword v60, off, s[24:27], 0 offset:64
	buffer_load_dword v61, off, s[24:27], 0 offset:68
	v_mul_f64 v[92:93], v[38:39], v[46:47]
	v_mul_f64 v[46:47], v[36:37], v[46:47]
	v_fma_f64 v[18:19], v[32:33], v[40:41], v[90:91]
	v_fma_f64 v[20:21], v[34:35], v[40:41], -v[42:43]
	;; [unrolled: 10-line block ×3, first 2 shown]
	s_waitcnt vmcnt(0)
	s_clause 0x1
	global_load_dwordx4 v[68:71], v[68:69], off offset:960
	global_load_dwordx4 v[72:75], v[72:73], off offset:464
	global_load_dwordx4 v[76:79], v[76:77], off
	v_mul_f64 v[96:97], v[58:59], v[62:63]
	v_mul_f64 v[62:63], v[56:57], v[62:63]
	v_fma_f64 v[26:27], v[48:49], v[52:53], v[94:95]
	v_fma_f64 v[28:29], v[50:51], v[52:53], -v[54:55]
	v_fma_f64 v[30:31], v[56:57], v[60:61], v[96:97]
	v_fma_f64 v[32:33], v[58:59], v[60:61], -v[62:63]
	s_waitcnt vmcnt(2)
	v_mul_f64 v[98:99], v[66:67], v[70:71]
	v_mul_f64 v[70:71], v[64:65], v[70:71]
	s_waitcnt vmcnt(0)
	v_mul_f64 v[100:101], v[78:79], v[74:75]
	v_mul_f64 v[74:75], v[76:77], v[74:75]
	v_fma_f64 v[34:35], v[64:65], v[68:69], v[98:99]
	v_fma_f64 v[36:37], v[66:67], v[68:69], -v[70:71]
	v_fma_f64 v[38:39], v[76:77], v[72:73], v[100:101]
	v_fma_f64 v[40:41], v[78:79], v[72:73], -v[74:75]
	ds_write_b128 v148, v[2:5] offset:2880
	ds_write_b128 v148, v[6:9] offset:6480
	;; [unrolled: 1-line block ×10, first 2 shown]
.LBB0_3:
	s_or_b32 exec_lo, exec_lo, s2
	s_waitcnt lgkmcnt(0)
	s_waitcnt_vscnt null, 0x0
	s_barrier
	buffer_gl0_inv
	ds_read_b128 v[16:19], v148 offset:3600
	ds_read_b128 v[116:119], v148 offset:1440
	;; [unrolled: 1-line block ×18, first 2 shown]
	ds_read_b128 v[60:63], v148
	ds_read_b128 v[52:55], v148 offset:33840
                                        ; implicit-def: $vgpr40_vgpr41
                                        ; implicit-def: $vgpr0_vgpr1
                                        ; implicit-def: $vgpr32_vgpr33
                                        ; implicit-def: $vgpr4_vgpr5
                                        ; implicit-def: $vgpr12_vgpr13
                                        ; implicit-def: $vgpr8_vgpr9
                                        ; implicit-def: $vgpr24_vgpr25
                                        ; implicit-def: $vgpr20_vgpr21
                                        ; implicit-def: $vgpr36_vgpr37
                                        ; implicit-def: $vgpr28_vgpr29
	s_and_saveexec_b32 s0, vcc_lo
	s_cbranch_execz .LBB0_5
; %bb.4:
	ds_read_b128 v[0:3], v148 offset:6480
	ds_read_b128 v[32:35], v148 offset:10080
	;; [unrolled: 1-line block ×10, first 2 shown]
.LBB0_5:
	s_or_b32 exec_lo, exec_lo, s0
	s_waitcnt lgkmcnt(1)
	v_add_f64 v[120:121], v[60:61], v[84:85]
	v_add_f64 v[134:135], v[108:109], v[92:93]
	v_add_f64 v[132:133], v[84:85], -v[108:109]
	v_add_f64 v[128:129], v[108:109], -v[84:85]
	v_add_f64 v[136:137], v[110:111], v[94:95]
	v_add_f64 v[122:123], v[108:109], -v[92:93]
	v_add_f64 v[130:131], v[110:111], -v[86:87]
	;; [unrolled: 1-line block ×3, first 2 shown]
	v_add_f64 v[138:139], v[84:85], v[96:97]
	v_add_f64 v[126:127], v[84:85], -v[96:97]
	v_add_f64 v[140:141], v[86:87], v[98:99]
	v_add_f64 v[84:85], v[92:93], -v[96:97]
	;; [unrolled: 2-line block ×3, first 2 shown]
	v_add_f64 v[154:155], v[68:69], -v[80:81]
	v_add_f64 v[156:157], v[80:81], -v[68:69]
	;; [unrolled: 1-line block ×5, first 2 shown]
	s_mov_b32 s12, 0x134454ff
	s_mov_b32 s13, 0x3fee6f0e
	v_add_f64 v[152:153], v[82:83], -v[74:75]
	v_add_f64 v[142:143], v[120:121], v[108:109]
	v_add_f64 v[120:121], v[62:63], v[86:87]
	v_add_f64 v[108:109], v[86:87], -v[110:111]
	v_add_f64 v[86:87], v[94:95], -v[98:99]
	v_add_f64 v[164:165], v[68:69], -v[76:77]
	v_fma_f64 v[134:135], v[134:135], -0.5, v[60:61]
	s_mov_b32 s14, 0x4755a5e
	s_mov_b32 s15, 0x3fe2cf23
	v_fma_f64 v[138:139], v[138:139], -0.5, v[60:61]
	s_mov_b32 s1, 0xbfee6f0e
	s_mov_b32 s0, s12
	v_fma_f64 v[136:137], v[136:137], -0.5, v[62:63]
	v_fma_f64 v[146:147], v[146:147], -0.5, v[18:19]
	;; [unrolled: 1-line block ×3, first 2 shown]
	s_mov_b32 s2, 0x372fe950
	s_mov_b32 s17, 0xbfe2cf23
	;; [unrolled: 1-line block ×6, first 2 shown]
	v_add_f64 v[84:85], v[128:129], v[84:85]
	v_add_f64 v[166:167], v[44:45], -v[56:57]
	v_add_f64 v[142:143], v[142:143], v[92:93]
	v_add_f64 v[144:145], v[120:121], v[110:111]
	v_add_f64 v[120:121], v[110:111], -v[94:95]
	v_add_f64 v[110:111], v[96:97], -v[92:93]
	;; [unrolled: 1-line block ×3, first 2 shown]
	v_add_f64 v[86:87], v[130:131], v[86:87]
	v_add_f64 v[168:169], v[56:57], -v[44:45]
	v_add_f64 v[170:171], v[58:59], -v[46:47]
	;; [unrolled: 1-line block ×3, first 2 shown]
	s_waitcnt lgkmcnt(0)
	v_add_f64 v[178:179], v[50:51], -v[54:55]
	v_add_f64 v[180:181], v[54:55], -v[50:51]
	;; [unrolled: 1-line block ×3, first 2 shown]
	v_fma_f64 v[62:63], v[164:165], s[0:1], v[146:147]
	v_add_f64 v[176:177], v[48:49], -v[52:53]
	v_add_f64 v[186:187], v[32:33], -v[12:13]
	;; [unrolled: 1-line block ×10, first 2 shown]
	v_add_f64 v[144:145], v[144:145], v[94:95]
	v_add_f64 v[94:95], v[142:143], v[96:97]
	;; [unrolled: 1-line block ×4, first 2 shown]
	v_add_f64 v[208:209], v[30:31], -v[22:23]
	v_fma_f64 v[62:63], v[150:151], s[16:17], v[62:63]
	v_add_f64 v[96:97], v[144:145], v[98:99]
	v_add_f64 v[98:99], v[16:17], v[68:69]
	;; [unrolled: 1-line block ×8, first 2 shown]
	v_fma_f64 v[144:145], v[144:145], -0.5, v[16:17]
	v_add_f64 v[142:143], v[74:75], -v[78:79]
	v_add_f64 v[74:75], v[78:79], -v[74:75]
	v_add_f64 v[68:69], v[98:99], v[72:73]
	v_add_f64 v[98:99], v[76:77], -v[72:73]
	v_add_f64 v[70:71], v[70:71], v[78:79]
	v_fma_f64 v[60:61], v[162:163], s[12:13], v[144:145]
	v_add_f64 v[72:73], v[72:73], -v[76:77]
	v_fma_f64 v[78:79], v[82:83], -0.5, v[16:17]
	v_add_f64 v[142:143], v[160:161], v[142:143]
	v_add_f64 v[160:161], v[106:107], -v[90:91]
	v_add_f64 v[68:69], v[68:69], v[76:77]
	v_fma_f64 v[76:77], v[80:81], -0.5, v[18:19]
	v_add_f64 v[82:83], v[96:97], v[70:71]
	v_add_f64 v[18:19], v[96:97], -v[70:71]
	v_add_f64 v[96:97], v[154:155], v[98:99]
	v_fma_f64 v[60:61], v[152:153], s[14:15], v[60:61]
	v_add_f64 v[98:99], v[158:159], v[74:75]
	v_fma_f64 v[70:71], v[126:127], s[0:1], v[136:137]
	v_add_f64 v[158:159], v[104:105], -v[88:89]
	v_add_f64 v[154:155], v[14:15], -v[26:27]
	v_add_f64 v[80:81], v[94:95], v[68:69]
	v_add_f64 v[16:17], v[94:95], -v[68:69]
	v_add_f64 v[94:95], v[132:133], v[110:111]
	v_add_f64 v[132:133], v[156:157], v[72:73]
	v_add_f64 v[156:157], v[24:25], -v[36:37]
	v_fma_f64 v[60:61], v[96:97], s[2:3], v[60:61]
	v_fma_f64 v[62:63], v[98:99], s[2:3], v[62:63]
	;; [unrolled: 1-line block ×3, first 2 shown]
	v_mul_f64 v[68:69], v[60:61], s[18:19]
	v_mul_f64 v[60:61], v[60:61], s[16:17]
	v_fma_f64 v[70:71], v[92:93], s[2:3], v[70:71]
	v_fma_f64 v[68:69], v[62:63], s[14:15], v[68:69]
	;; [unrolled: 1-line block ×4, first 2 shown]
	v_add_f64 v[110:111], v[70:71], v[62:63]
	v_fma_f64 v[60:61], v[120:121], s[14:15], v[60:61]
	v_add_f64 v[62:63], v[70:71], -v[62:63]
	v_fma_f64 v[70:71], v[152:153], s[0:1], v[78:79]
	v_fma_f64 v[78:79], v[152:153], s[12:13], v[78:79]
	;; [unrolled: 1-line block ×5, first 2 shown]
	v_add_f64 v[108:109], v[60:61], v[68:69]
	v_add_f64 v[60:61], v[60:61], -v[68:69]
	v_fma_f64 v[68:69], v[150:151], s[12:13], v[76:77]
	v_fma_f64 v[70:71], v[132:133], s[2:3], v[70:71]
	;; [unrolled: 1-line block ×8, first 2 shown]
	v_add_f64 v[142:143], v[26:27], -v[38:39]
	v_mul_f64 v[72:73], v[68:69], s[12:13]
	v_fma_f64 v[128:129], v[70:71], s[2:3], v[72:73]
	v_mul_f64 v[70:71], v[70:71], s[0:1]
	v_fma_f64 v[72:73], v[122:123], s[12:13], v[140:141]
	v_fma_f64 v[70:71], v[68:69], s[2:3], v[70:71]
	v_fma_f64 v[68:69], v[120:121], s[0:1], v[138:139]
	v_fma_f64 v[72:73], v[126:127], s[16:17], v[72:73]
	v_fma_f64 v[68:69], v[124:125], s[14:15], v[68:69]
	v_fma_f64 v[130:131], v[86:87], s[2:3], v[72:73]
	v_fma_f64 v[68:69], v[84:85], s[2:3], v[68:69]
	v_add_f64 v[74:75], v[130:131], v[70:71]
	v_add_f64 v[70:71], v[130:131], -v[70:71]
	v_add_f64 v[72:73], v[68:69], v[128:129]
	v_add_f64 v[68:69], v[68:69], -v[128:129]
	v_fma_f64 v[128:129], v[120:121], s[12:13], v[138:139]
	v_fma_f64 v[128:129], v[124:125], s[16:17], v[128:129]
	;; [unrolled: 1-line block ×3, first 2 shown]
	v_add_f64 v[134:135], v[114:115], -v[102:103]
	v_fma_f64 v[128:129], v[84:85], s[2:3], v[128:129]
	v_fma_f64 v[84:85], v[122:123], s[0:1], v[140:141]
	;; [unrolled: 1-line block ×3, first 2 shown]
	v_add_f64 v[140:141], v[12:13], -v[24:25]
	v_add_f64 v[134:135], v[134:135], v[160:161]
	v_add_f64 v[160:161], v[168:169], v[176:177]
	v_fma_f64 v[84:85], v[126:127], s[14:15], v[84:85]
	v_fma_f64 v[126:127], v[126:127], s[12:13], v[136:137]
	;; [unrolled: 1-line block ×4, first 2 shown]
	v_mul_f64 v[84:85], v[78:79], s[2:3]
	v_fma_f64 v[122:123], v[122:123], s[14:15], v[126:127]
	v_add_f64 v[126:127], v[114:115], v[106:107]
	v_fma_f64 v[132:133], v[76:77], s[12:13], -v[84:85]
	v_mul_f64 v[76:77], v[76:77], s[2:3]
	v_fma_f64 v[120:121], v[92:93], s[2:3], v[122:123]
	v_fma_f64 v[126:127], v[126:127], -0.5, v[118:119]
	v_add_f64 v[84:85], v[128:129], v[132:133]
	v_fma_f64 v[78:79], v[78:79], s[0:1], -v[76:77]
	v_add_f64 v[76:77], v[128:129], -v[132:133]
	v_fma_f64 v[128:129], v[162:163], s[0:1], v[144:145]
	v_add_f64 v[132:133], v[112:113], -v[100:101]
	v_add_f64 v[144:145], v[44:45], -v[52:53]
	v_add_f64 v[86:87], v[130:131], v[78:79]
	v_add_f64 v[78:79], v[130:131], -v[78:79]
	v_fma_f64 v[130:131], v[164:165], s[12:13], v[146:147]
	v_fma_f64 v[128:129], v[152:153], s[16:17], v[128:129]
	v_add_f64 v[146:147], v[46:47], -v[54:55]
	v_add_f64 v[132:133], v[132:133], v[158:159]
	v_add_f64 v[158:159], v[172:173], v[180:181]
	v_fma_f64 v[130:131], v[150:151], s[14:15], v[130:131]
	v_fma_f64 v[96:97], v[96:97], s[2:3], v[128:129]
	v_add_f64 v[128:129], v[116:117], v[112:113]
	v_fma_f64 v[98:99], v[98:99], s[2:3], v[130:131]
	v_mul_f64 v[92:93], v[96:97], s[18:19]
	v_add_f64 v[130:131], v[118:119], v[114:115]
	v_add_f64 v[128:129], v[128:129], v[100:101]
	v_fma_f64 v[92:93], v[98:99], s[14:15], -v[92:93]
	v_mul_f64 v[98:99], v[98:99], s[18:19]
	v_add_f64 v[130:131], v[130:131], v[102:103]
	v_add_f64 v[136:137], v[128:129], v[88:89]
	v_add_f64 v[128:129], v[88:89], -v[104:105]
	v_fma_f64 v[122:123], v[96:97], s[16:17], -v[98:99]
	v_add_f64 v[96:97], v[94:95], v[92:93]
	v_add_f64 v[92:93], v[94:95], -v[92:93]
	v_add_f64 v[138:139], v[130:131], v[90:91]
	v_add_f64 v[130:131], v[90:91], -v[106:107]
	;; [unrolled: 2-line block ×4, first 2 shown]
	v_add_f64 v[120:121], v[100:101], v[88:89]
	v_add_f64 v[122:123], v[112:113], v[104:105]
	;; [unrolled: 1-line block ×3, first 2 shown]
	v_add_f64 v[138:139], v[58:59], -v[50:51]
	v_fma_f64 v[120:121], v[120:121], -0.5, v[116:117]
	v_fma_f64 v[124:125], v[122:123], -0.5, v[116:117]
	v_add_f64 v[122:123], v[102:103], v[90:91]
	v_add_f64 v[116:117], v[114:115], -v[106:107]
	v_add_f64 v[114:115], v[102:103], -v[114:115]
	;; [unrolled: 1-line block ×3, first 2 shown]
	v_add_f64 v[90:91], v[46:47], v[54:55]
	v_fma_f64 v[122:123], v[122:123], -0.5, v[118:119]
	v_add_f64 v[118:119], v[112:113], -v[104:105]
	v_add_f64 v[112:113], v[100:101], -v[112:113]
	;; [unrolled: 1-line block ×3, first 2 shown]
	v_add_f64 v[88:89], v[56:57], v[48:49]
	v_fma_f64 v[104:105], v[90:91], -0.5, v[66:67]
	v_add_f64 v[90:91], v[44:45], v[52:53]
	v_add_f64 v[114:115], v[114:115], v[130:131]
	;; [unrolled: 1-line block ×3, first 2 shown]
	v_fma_f64 v[88:89], v[88:89], -0.5, v[64:65]
	v_fma_f64 v[106:107], v[90:91], -0.5, v[64:65]
	v_add_f64 v[90:91], v[58:59], v[50:51]
	v_add_f64 v[64:65], v[64:65], v[44:45]
	v_fma_f64 v[90:91], v[90:91], -0.5, v[66:67]
	v_add_f64 v[66:67], v[66:67], v[46:47]
	v_add_f64 v[64:65], v[64:65], v[56:57]
	v_add_f64 v[56:57], v[32:33], -v[36:37]
	v_add_f64 v[66:67], v[66:67], v[58:59]
	v_add_f64 v[44:45], v[64:65], v[48:49]
	v_add_f64 v[58:59], v[34:35], -v[38:39]
	v_add_f64 v[64:65], v[14:15], -v[34:35]
	v_add_f64 v[46:47], v[66:67], v[50:51]
	v_add_f64 v[182:183], v[44:45], v[52:53]
	;; [unrolled: 1-line block ×3, first 2 shown]
	v_add_f64 v[66:67], v[12:13], -v[32:33]
	v_add_f64 v[184:185], v[46:47], v[54:55]
	v_fma_f64 v[54:55], v[44:45], -0.5, v[40:41]
	v_add_f64 v[44:45], v[32:33], v[36:37]
	v_add_f64 v[66:67], v[66:67], v[156:157]
	v_fma_f64 v[52:53], v[44:45], -0.5, v[40:41]
	v_add_f64 v[40:41], v[40:41], v[32:33]
	v_add_f64 v[44:45], v[14:15], v[26:27]
	;; [unrolled: 1-line block ×3, first 2 shown]
	v_fma_f64 v[48:49], v[44:45], -0.5, v[42:43]
	v_add_f64 v[44:45], v[34:35], v[38:39]
	v_add_f64 v[12:13], v[32:33], v[24:25]
	v_fma_f64 v[24:25], v[146:147], s[12:13], v[88:89]
	v_fma_f64 v[50:51], v[44:45], -0.5, v[42:43]
	v_add_f64 v[42:43], v[42:43], v[34:35]
	v_fma_f64 v[88:89], v[146:147], s[0:1], v[88:89]
	v_add_f64 v[40:41], v[12:13], v[36:37]
	v_add_f64 v[12:13], v[8:9], v[20:21]
	v_fma_f64 v[24:25], v[138:139], s[14:15], v[24:25]
	v_add_f64 v[34:35], v[42:43], v[14:15]
	v_fma_f64 v[88:89], v[138:139], s[16:17], v[88:89]
	v_fma_f64 v[194:195], v[12:13], -0.5, v[0:1]
	v_add_f64 v[12:13], v[10:11], v[22:23]
	v_add_f64 v[14:15], v[34:35], v[26:27]
	v_fma_f64 v[26:27], v[144:145], s[0:1], v[90:91]
	v_fma_f64 v[90:91], v[144:145], s[12:13], v[90:91]
	v_fma_f64 v[150:151], v[12:13], -0.5, v[2:3]
	v_add_f64 v[12:13], v[6:7], v[30:31]
	v_add_f64 v[42:43], v[14:15], v[38:39]
	v_add_f64 v[14:15], v[4:5], -v[8:9]
	v_fma_f64 v[26:27], v[136:137], s[16:17], v[26:27]
	v_fma_f64 v[90:91], v[136:137], s[14:15], v[90:91]
	v_fma_f64 v[152:153], v[12:13], -0.5, v[2:3]
	v_add_f64 v[12:13], v[4:5], v[28:29]
	v_fma_f64 v[26:27], v[158:159], s[2:3], v[26:27]
	v_fma_f64 v[90:91], v[158:159], s[2:3], v[90:91]
	v_fma_f64 v[196:197], v[12:13], -0.5, v[0:1]
	v_add_f64 v[0:1], v[0:1], v[4:5]
	v_add_f64 v[12:13], v[2:3], v[6:7]
	v_add_f64 v[2:3], v[4:5], -v[28:29]
	v_add_f64 v[4:5], v[0:1], v[8:9]
	v_add_f64 v[0:1], v[8:9], -v[20:21]
	v_add_f64 v[8:9], v[162:163], v[182:183]
	v_add_f64 v[6:7], v[12:13], v[10:11]
	v_add_f64 v[12:13], v[28:29], -v[20:21]
	v_add_f64 v[10:11], v[164:165], v[184:185]
	;; [unrolled: 3-line block ×3, first 2 shown]
	v_add_f64 v[22:23], v[22:23], -v[30:31]
	v_add_f64 v[44:45], v[4:5], v[28:29]
	v_add_f64 v[4:5], v[162:163], -v[182:183]
	v_add_f64 v[162:163], v[166:167], v[174:175]
	v_add_f64 v[46:47], v[6:7], v[30:31]
	v_add_f64 v[6:7], v[164:165], -v[184:185]
	v_add_f64 v[164:165], v[170:171], v[178:179]
	v_add_f64 v[20:21], v[200:201], v[20:21]
	;; [unrolled: 1-line block ×3, first 2 shown]
	v_fma_f64 v[24:25], v[162:163], s[2:3], v[24:25]
	v_fma_f64 v[88:89], v[162:163], s[2:3], v[88:89]
	v_mul_f64 v[28:29], v[24:25], s[18:19]
	v_mul_f64 v[24:25], v[24:25], s[16:17]
	v_fma_f64 v[32:33], v[26:27], s[14:15], v[28:29]
	v_fma_f64 v[26:27], v[26:27], s[18:19], v[24:25]
	;; [unrolled: 1-line block ×8, first 2 shown]
	v_add_f64 v[28:29], v[24:25], v[32:33]
	v_add_f64 v[24:25], v[24:25], -v[32:33]
	v_fma_f64 v[32:33], v[136:137], s[12:13], v[104:105]
	v_add_f64 v[30:31], v[34:35], v[26:27]
	v_add_f64 v[26:27], v[34:35], -v[26:27]
	v_fma_f64 v[34:35], v[138:139], s[0:1], v[106:107]
	v_fma_f64 v[106:107], v[138:139], s[12:13], v[106:107]
	;; [unrolled: 1-line block ×3, first 2 shown]
	buffer_load_dword v138, off, s[24:27], 0 ; 4-byte Folded Reload
	s_waitcnt vmcnt(0)
	s_barrier
	buffer_gl0_inv
	v_fma_f64 v[32:33], v[144:145], s[16:17], v[32:33]
	v_fma_f64 v[34:35], v[146:147], s[14:15], v[34:35]
	;; [unrolled: 1-line block ×8, first 2 shown]
	v_mul_f64 v[36:37], v[32:33], s[12:13]
	v_fma_f64 v[128:129], v[34:35], s[2:3], v[36:37]
	v_mul_f64 v[34:35], v[34:35], s[0:1]
	v_fma_f64 v[36:37], v[100:101], s[12:13], v[126:127]
	v_fma_f64 v[34:35], v[32:33], s[2:3], v[34:35]
	;; [unrolled: 1-line block ×11, first 2 shown]
	v_add_f64 v[38:39], v[130:131], v[34:35]
	v_add_f64 v[34:35], v[130:131], -v[34:35]
	v_add_f64 v[36:37], v[32:33], v[128:129]
	v_add_f64 v[32:33], v[32:33], -v[128:129]
	v_fma_f64 v[112:113], v[118:119], s[14:15], v[112:113]
	v_fma_f64 v[126:127], v[114:115], s[2:3], v[112:113]
	v_mul_f64 v[112:113], v[106:107], s[2:3]
	v_fma_f64 v[128:129], v[104:105], s[12:13], -v[112:113]
	v_mul_f64 v[104:105], v[104:105], s[2:3]
	v_add_f64 v[112:113], v[124:125], v[128:129]
	v_fma_f64 v[104:105], v[106:107], s[0:1], -v[104:105]
	v_fma_f64 v[106:107], v[118:119], s[12:13], v[122:123]
	v_add_f64 v[124:125], v[124:125], -v[128:129]
	v_add_f64 v[114:115], v[126:127], v[104:105]
	v_add_f64 v[126:127], v[126:127], -v[104:105]
	v_fma_f64 v[104:105], v[116:117], s[0:1], v[120:121]
	v_fma_f64 v[100:101], v[100:101], s[14:15], v[106:107]
	v_add_f64 v[106:107], v[188:189], v[192:193]
	v_fma_f64 v[102:103], v[102:103], s[16:17], v[104:105]
	v_mul_f64 v[104:105], v[88:89], s[18:19]
	v_fma_f64 v[100:101], v[134:135], s[2:3], v[100:101]
	v_fma_f64 v[102:103], v[132:133], s[2:3], v[102:103]
	v_fma_f64 v[104:105], v[90:91], s[14:15], -v[104:105]
	v_mul_f64 v[90:91], v[90:91], s[18:19]
	v_fma_f64 v[132:133], v[2:3], s[0:1], v[150:151]
	v_add_f64 v[116:117], v[102:103], v[104:105]
	v_fma_f64 v[88:89], v[88:89], s[16:17], -v[90:91]
	v_add_f64 v[120:121], v[102:103], -v[104:105]
	v_add_f64 v[102:103], v[202:203], v[208:209]
	v_add_f64 v[104:105], v[186:187], v[190:191]
	;; [unrolled: 1-line block ×3, first 2 shown]
	v_add_f64 v[122:123], v[100:101], -v[88:89]
	v_add_f64 v[100:101], v[14:15], v[12:13]
	v_fma_f64 v[12:13], v[198:199], s[0:1], v[194:195]
	v_fma_f64 v[14:15], v[2:3], s[12:13], v[150:151]
	;; [unrolled: 1-line block ×6, first 2 shown]
	v_mul_f64 v[88:89], v[12:13], s[18:19]
	v_fma_f64 v[88:89], v[14:15], s[14:15], -v[88:89]
	v_mul_f64 v[14:15], v[14:15], s[18:19]
	v_fma_f64 v[90:91], v[12:13], s[16:17], -v[14:15]
	v_fma_f64 v[12:13], v[58:59], s[0:1], v[54:55]
	v_fma_f64 v[14:15], v[56:57], s[12:13], v[48:49]
	;; [unrolled: 1-line block ×9, first 2 shown]
	v_add_f64 v[12:13], v[128:129], v[88:89]
	v_add_f64 v[88:89], v[128:129], -v[88:89]
	v_mul_lo_u16 v128, v138, 10
	v_mov_b32_e32 v129, 4
	v_add_f64 v[14:15], v[130:131], v[90:91]
	v_add_f64 v[90:91], v[130:131], -v[90:91]
	v_fma_f64 v[130:131], v[0:1], s[0:1], v[152:153]
	v_lshlrev_b32_sdwa v139, v129, v128 dst_sel:DWORD dst_unused:UNUSED_PAD src0_sel:DWORD src1_sel:WORD_0
	ds_write_b128 v139, v[80:83]
	ds_write_b128 v139, v[108:111] offset:16
	v_fma_f64 v[80:81], v[198:199], s[12:13], v[194:195]
	v_fma_f64 v[110:111], v[154:155], s[0:1], v[52:53]
	;; [unrolled: 1-line block ×7, first 2 shown]
	v_add_f64 v[132:133], v[64:65], v[142:143]
	ds_write_b128 v139, v[16:19] offset:80
	ds_write_b128 v139, v[72:75] offset:32
	ds_write_b128 v139, v[84:87] offset:48
	ds_write_b128 v139, v[96:99] offset:64
	ds_write_b128 v139, v[60:63] offset:96
	ds_write_b128 v139, v[68:71] offset:112
	ds_write_b128 v139, v[76:79] offset:128
	buffer_store_dword v139, off, s[24:27], 0 offset:472 ; 4-byte Folded Spill
	v_fma_f64 v[80:81], v[206:207], s[14:15], v[80:81]
	v_fma_f64 v[110:111], v[58:59], s[14:15], v[110:111]
	;; [unrolled: 1-line block ×22, first 2 shown]
	v_mul_f64 v[22:23], v[100:101], s[18:19]
	v_fma_f64 v[64:65], v[132:133], s[2:3], v[58:59]
	v_mul_f64 v[58:59], v[100:101], s[16:17]
	v_fma_f64 v[80:81], v[132:133], s[2:3], v[134:135]
	v_fma_f64 v[54:55], v[0:1], s[14:15], v[22:23]
	;; [unrolled: 1-line block ×3, first 2 shown]
	v_mul_f64 v[0:1], v[108:109], s[12:13]
	v_add_f64 v[22:23], v[56:57], -v[82:83]
	v_fma_f64 v[58:59], v[20:21], s[2:3], v[0:1]
	v_mul_f64 v[0:1], v[20:21], s[0:1]
	v_add_f64 v[20:21], v[48:49], -v[54:55]
	v_add_f64 v[104:105], v[50:51], -v[58:59]
	v_fma_f64 v[108:109], v[108:109], s[2:3], v[0:1]
	v_mul_f64 v[0:1], v[136:137], s[2:3]
	v_add_f64 v[106:107], v[64:65], -v[108:109]
	v_fma_f64 v[66:67], v[2:3], s[12:13], -v[0:1]
	v_mul_f64 v[0:1], v[2:3], s[2:3]
	v_add_f64 v[2:3], v[42:43], -v[46:47]
	s_load_dwordx2 s[2:3], s[4:5], 0x8
	v_add_f64 v[100:101], v[52:53], -v[66:67]
	v_fma_f64 v[110:111], v[136:137], s[0:1], -v[0:1]
	v_add_f64 v[0:1], v[40:41], -v[44:45]
	v_add_co_u32 v161, s0, 0x5a, v138
	v_add_co_ci_u32_e64 v154, null, 0, 0, s0
	v_add_co_u32 v160, s0, 0xb4, v138
	v_mul_u32_u24_e32 v16, 10, v161
	v_lshlrev_b32_e32 v17, 4, v16
	ds_write_b128 v139, v[92:95] offset:144
	ds_write_b128 v17, v[8:11]
	ds_write_b128 v17, v[28:31] offset:16
	ds_write_b128 v17, v[36:39] offset:32
	;; [unrolled: 1-line block ×5, first 2 shown]
	v_mul_u32_u24_e32 v4, 10, v160
	v_add_co_ci_u32_e64 v16, null, 0, 0, s0
	v_add_f64 v[102:103], v[80:81], -v[110:111]
	buffer_store_dword v4, off, s[24:27], 0 offset:1356 ; 4-byte Folded Spill
	ds_write_b128 v17, v[24:27] offset:96
	ds_write_b128 v17, v[32:35] offset:112
	;; [unrolled: 1-line block ×3, first 2 shown]
	buffer_store_dword v17, off, s[24:27], 0 offset:492 ; 4-byte Folded Spill
	ds_write_b128 v17, v[120:123] offset:144
	s_and_saveexec_b32 s0, vcc_lo
	s_cbranch_execz .LBB0_7
; %bb.6:
	v_add_f64 v[26:27], v[42:43], v[46:47]
	v_add_f64 v[24:25], v[40:41], v[44:45]
	;; [unrolled: 1-line block ×8, first 2 shown]
	v_mul_u32_u24_e32 v28, 10, v160
	v_lshlrev_b32_e32 v28, 4, v28
	ds_write_b128 v28, v[12:15] offset:64
	ds_write_b128 v28, v[0:3] offset:80
	;; [unrolled: 1-line block ×5, first 2 shown]
	ds_write_b128 v28, v[24:27]
	ds_write_b128 v28, v[16:19] offset:16
	ds_write_b128 v28, v[8:11] offset:32
	;; [unrolled: 1-line block ×4, first 2 shown]
.LBB0_7:
	s_or_b32 exec_lo, exec_lo, s0
	s_waitcnt lgkmcnt(0)
	s_waitcnt_vscnt null, 0x0
	s_barrier
	buffer_gl0_inv
	ds_read_b128 v[44:47], v148 offset:1440
	ds_read_b128 v[40:43], v148 offset:2880
	;; [unrolled: 1-line block ×22, first 2 shown]
	ds_read_b128 v[48:51], v148
	ds_read_b128 v[52:55], v148 offset:34080
	buffer_load_dword v120, off, s[24:27], 0 ; 4-byte Folded Reload
	s_waitcnt vmcnt(0)
	v_cmp_gt_u16_e64 s0, 30, v120
	s_and_saveexec_b32 s1, s0
	s_cbranch_execz .LBB0_9
; %bb.8:
	ds_read_b128 v[0:3], v148 offset:23520
	ds_read_b128 v[12:15], v148 offset:11520
	;; [unrolled: 1-line block ×3, first 2 shown]
.LBB0_9:
	s_or_b32 exec_lo, exec_lo, s1
	buffer_load_dword v158, off, s[24:27], 0 ; 4-byte Folded Reload
	s_mov_b32 s4, 0xe8584caa
	s_mov_b32 s5, 0x3febb67a
	;; [unrolled: 1-line block ×4, first 2 shown]
	s_waitcnt vmcnt(0)
	v_and_b32_e32 v120, 0xff, v158
	v_add_co_u32 v150, s14, 0x10e, v158
	v_add_co_u32 v168, s1, 0x168, v158
	v_mul_lo_u16 v120, 0xcd, v120
	v_add_nc_u16 v157, v158, 0x1c2
	v_add_co_u32 v156, null, 0x21c, v158
	v_add_nc_u16 v155, v158, 0x276
	v_lshrrev_b16 v122, 11, v120
	v_mul_lo_u16 v120, v122, 10
	v_sub_nc_u16 v120, v158, v120
	v_add_nc_u16 v158, v158, 0x2d0
	v_and_b32_e32 v123, 0xff, v120
	v_lshlrev_b32_e32 v124, 5, v123
	global_load_dwordx4 v[125:128], v124, s[2:3]
	s_waitcnt vmcnt(0) lgkmcnt(5)
	v_mul_f64 v[120:121], v[118:119], v[127:128]
	v_fma_f64 v[120:121], v[116:117], v[125:126], -v[120:121]
	v_mul_f64 v[116:117], v[116:117], v[127:128]
	buffer_store_dword v125, off, s[24:27], 0 offset:452 ; 4-byte Folded Spill
	buffer_store_dword v126, off, s[24:27], 0 offset:456 ; 4-byte Folded Spill
	;; [unrolled: 1-line block ×4, first 2 shown]
	v_fma_f64 v[116:117], v[118:119], v[125:126], v[116:117]
	global_load_dwordx4 v[124:127], v124, s[2:3] offset:16
	s_waitcnt vmcnt(0) lgkmcnt(3)
	v_mul_f64 v[118:119], v[114:115], v[126:127]
	v_fma_f64 v[118:119], v[112:113], v[124:125], -v[118:119]
	v_mul_f64 v[112:113], v[112:113], v[126:127]
	buffer_store_dword v124, off, s[24:27], 0 offset:436 ; 4-byte Folded Spill
	buffer_store_dword v125, off, s[24:27], 0 offset:440 ; 4-byte Folded Spill
	;; [unrolled: 1-line block ×4, first 2 shown]
	v_fma_f64 v[112:113], v[114:115], v[124:125], v[112:113]
	v_and_b32_e32 v114, 0xff, v161
	v_mul_lo_u16 v115, 0xcd, v114
	v_lshrrev_b16 v147, 11, v115
	v_mul_lo_u16 v115, v147, 10
	v_sub_nc_u16 v115, v161, v115
	v_and_b32_e32 v153, 0xff, v115
	v_lshlrev_b32_e32 v115, 5, v153
	global_load_dwordx4 v[126:129], v115, s[2:3]
	s_waitcnt vmcnt(0)
	v_mul_f64 v[124:125], v[110:111], v[128:129]
	v_fma_f64 v[124:125], v[108:109], v[126:127], -v[124:125]
	v_mul_f64 v[108:109], v[108:109], v[128:129]
	buffer_store_dword v126, off, s[24:27], 0 offset:1000 ; 4-byte Folded Spill
	buffer_store_dword v127, off, s[24:27], 0 offset:1004 ; 4-byte Folded Spill
	;; [unrolled: 1-line block ×4, first 2 shown]
	v_fma_f64 v[108:109], v[110:111], v[126:127], v[108:109]
	global_load_dwordx4 v[126:129], v115, s[2:3] offset:16
	v_mov_b32_e32 v115, 0xcccd
	s_waitcnt vmcnt(0)
	v_mul_f64 v[110:111], v[98:99], v[128:129]
	v_fma_f64 v[110:111], v[96:97], v[126:127], -v[110:111]
	v_mul_f64 v[96:97], v[96:97], v[128:129]
	buffer_store_dword v126, off, s[24:27], 0 offset:984 ; 4-byte Folded Spill
	buffer_store_dword v127, off, s[24:27], 0 offset:988 ; 4-byte Folded Spill
	;; [unrolled: 1-line block ×4, first 2 shown]
	v_mov_b32_e32 v128, 4
	v_fma_f64 v[96:97], v[98:99], v[126:127], v[96:97]
	v_mul_u32_u24_sdwa v98, v160, v115 dst_sel:DWORD dst_unused:UNUSED_PAD src0_sel:WORD_0 src1_sel:DWORD
	v_lshrrev_b32_e32 v159, 19, v98
	v_mul_lo_u16 v98, v159, 10
	v_sub_nc_u16 v169, v160, v98
	v_lshlrev_b16 v98, 1, v169
	v_lshlrev_b32_sdwa v126, v128, v98 dst_sel:DWORD dst_unused:UNUSED_PAD src0_sel:DWORD src1_sel:WORD_0
	global_load_dwordx4 v[129:132], v126, s[2:3]
	s_waitcnt vmcnt(0)
	v_mul_f64 v[98:99], v[94:95], v[131:132]
	v_fma_f64 v[98:99], v[92:93], v[129:130], -v[98:99]
	v_mul_f64 v[92:93], v[92:93], v[131:132]
	buffer_store_dword v129, off, s[24:27], 0 offset:1048 ; 4-byte Folded Spill
	buffer_store_dword v130, off, s[24:27], 0 offset:1052 ; 4-byte Folded Spill
	;; [unrolled: 1-line block ×4, first 2 shown]
	v_fma_f64 v[92:93], v[94:95], v[129:130], v[92:93]
	global_load_dwordx4 v[129:132], v126, s[2:3] offset:16
	s_waitcnt vmcnt(0)
	v_mul_f64 v[94:95], v[10:11], v[131:132]
	v_fma_f64 v[94:95], v[8:9], v[129:130], -v[94:95]
	v_mul_f64 v[8:9], v[8:9], v[131:132]
	buffer_store_dword v129, off, s[24:27], 0 offset:1032 ; 4-byte Folded Spill
	buffer_store_dword v130, off, s[24:27], 0 offset:1036 ; 4-byte Folded Spill
	;; [unrolled: 1-line block ×4, first 2 shown]
	v_fma_f64 v[10:11], v[10:11], v[129:130], v[8:9]
	v_mul_u32_u24_sdwa v8, v150, v115 dst_sel:DWORD dst_unused:UNUSED_PAD src0_sel:WORD_0 src1_sel:DWORD
	v_lshrrev_b32_e32 v170, 19, v8
	v_mul_lo_u16 v8, v170, 10
	v_sub_nc_u16 v171, v150, v8
	v_lshlrev_b16 v8, 1, v171
	v_lshlrev_b32_sdwa v129, v128, v8 dst_sel:DWORD dst_unused:UNUSED_PAD src0_sel:DWORD src1_sel:WORD_0
	global_load_dwordx4 v[130:133], v129, s[2:3]
	s_waitcnt vmcnt(0)
	v_mul_f64 v[8:9], v[86:87], v[132:133]
	v_fma_f64 v[126:127], v[84:85], v[130:131], -v[8:9]
	v_mul_f64 v[8:9], v[84:85], v[132:133]
	buffer_store_dword v130, off, s[24:27], 0 offset:1128 ; 4-byte Folded Spill
	buffer_store_dword v131, off, s[24:27], 0 offset:1132 ; 4-byte Folded Spill
	;; [unrolled: 1-line block ×4, first 2 shown]
	v_fma_f64 v[84:85], v[86:87], v[130:131], v[8:9]
	global_load_dwordx4 v[129:132], v129, s[2:3] offset:16
	s_waitcnt vmcnt(0)
	v_mul_f64 v[8:9], v[6:7], v[131:132]
	v_fma_f64 v[86:87], v[4:5], v[129:130], -v[8:9]
	v_mul_f64 v[4:5], v[4:5], v[131:132]
	buffer_store_dword v129, off, s[24:27], 0 offset:1096 ; 4-byte Folded Spill
	buffer_store_dword v130, off, s[24:27], 0 offset:1100 ; 4-byte Folded Spill
	;; [unrolled: 1-line block ×4, first 2 shown]
	v_fma_f64 v[129:130], v[6:7], v[129:130], v[4:5]
	v_mul_u32_u24_sdwa v4, v168, v115 dst_sel:DWORD dst_unused:UNUSED_PAD src0_sel:WORD_0 src1_sel:DWORD
	v_lshrrev_b32_e32 v172, 19, v4
	v_mul_lo_u16 v4, v172, 10
	v_sub_nc_u16 v173, v168, v4
	v_lshlrev_b16 v4, 1, v173
	v_lshlrev_b32_sdwa v6, v128, v4 dst_sel:DWORD dst_unused:UNUSED_PAD src0_sel:DWORD src1_sel:WORD_0
	global_load_dwordx4 v[133:136], v6, s[2:3]
	s_waitcnt vmcnt(0)
	v_mul_f64 v[4:5], v[82:83], v[135:136]
	v_fma_f64 v[131:132], v[80:81], v[133:134], -v[4:5]
	v_mul_f64 v[4:5], v[80:81], v[135:136]
	buffer_store_dword v133, off, s[24:27], 0 offset:1112 ; 4-byte Folded Spill
	buffer_store_dword v134, off, s[24:27], 0 offset:1116 ; 4-byte Folded Spill
	;; [unrolled: 1-line block ×4, first 2 shown]
	global_load_dwordx4 v[6:9], v6, s[2:3] offset:16
	v_add_f64 v[80:81], v[84:85], v[129:130]
	v_fma_f64 v[133:134], v[82:83], v[133:134], v[4:5]
	v_add_f64 v[82:83], v[84:85], -v[129:130]
	s_waitcnt vmcnt(0)
	v_mul_f64 v[4:5], v[78:79], v[8:9]
	v_fma_f64 v[135:136], v[76:77], v[6:7], -v[4:5]
	v_mul_f64 v[4:5], v[76:77], v[8:9]
	buffer_store_dword v6, off, s[24:27], 0 offset:1016 ; 4-byte Folded Spill
	buffer_store_dword v7, off, s[24:27], 0 offset:1020 ; 4-byte Folded Spill
	;; [unrolled: 1-line block ×4, first 2 shown]
	v_fma_f64 v[137:138], v[78:79], v[6:7], v[4:5]
	v_mul_u32_u24_sdwa v4, v157, v115 dst_sel:DWORD dst_unused:UNUSED_PAD src0_sel:WORD_0 src1_sel:DWORD
	v_lshrrev_b32_e32 v174, 19, v4
	v_mul_lo_u16 v4, v174, 10
	v_sub_nc_u16 v175, v157, v4
	v_lshlrev_b16 v4, 1, v175
	v_lshlrev_b32_sdwa v6, v128, v4 dst_sel:DWORD dst_unused:UNUSED_PAD src0_sel:DWORD src1_sel:WORD_0
	global_load_dwordx4 v[76:79], v6, s[2:3]
	s_waitcnt vmcnt(0)
	v_mul_f64 v[4:5], v[74:75], v[78:79]
	v_fma_f64 v[139:140], v[72:73], v[76:77], -v[4:5]
	v_mul_f64 v[4:5], v[72:73], v[78:79]
	buffer_store_dword v76, off, s[24:27], 0 offset:936 ; 4-byte Folded Spill
	buffer_store_dword v77, off, s[24:27], 0 offset:940 ; 4-byte Folded Spill
	;; [unrolled: 1-line block ×4, first 2 shown]
	global_load_dwordx4 v[6:9], v6, s[2:3] offset:16
	v_add_f64 v[72:73], v[124:125], -v[110:111]
	v_fma_f64 v[141:142], v[74:75], v[76:77], v[4:5]
	v_add_f64 v[76:77], v[92:93], -v[10:11]
	s_waitcnt vmcnt(0)
	v_mul_f64 v[4:5], v[70:71], v[8:9]
	v_fma_f64 v[143:144], v[68:69], v[6:7], -v[4:5]
	v_mul_f64 v[4:5], v[68:69], v[8:9]
	buffer_store_dword v6, off, s[24:27], 0 offset:872 ; 4-byte Folded Spill
	buffer_store_dword v7, off, s[24:27], 0 offset:876 ; 4-byte Folded Spill
	;; [unrolled: 1-line block ×4, first 2 shown]
	v_fma_f64 v[145:146], v[70:71], v[6:7], v[4:5]
	v_mul_u32_u24_sdwa v4, v156, v115 dst_sel:DWORD dst_unused:UNUSED_PAD src0_sel:WORD_0 src1_sel:DWORD
	v_lshrrev_b32_e32 v176, 19, v4
	v_mul_lo_u16 v4, v176, 10
	v_sub_nc_u16 v177, v156, v4
	v_lshlrev_b16 v4, 1, v177
	v_lshlrev_b32_sdwa v6, v128, v4 dst_sel:DWORD dst_unused:UNUSED_PAD src0_sel:DWORD src1_sel:WORD_0
	global_load_dwordx4 v[68:71], v6, s[2:3]
	s_waitcnt vmcnt(0)
	v_mul_f64 v[4:5], v[66:67], v[70:71]
	v_fma_f64 v[151:152], v[64:65], v[68:69], -v[4:5]
	v_mul_f64 v[4:5], v[64:65], v[70:71]
	buffer_store_dword v68, off, s[24:27], 0 offset:856 ; 4-byte Folded Spill
	buffer_store_dword v69, off, s[24:27], 0 offset:860 ; 4-byte Folded Spill
	;; [unrolled: 1-line block ×4, first 2 shown]
	global_load_dwordx4 v[6:9], v6, s[2:3] offset:16
	v_fma_f64 v[64:65], v[66:67], v[68:69], v[4:5]
	s_waitcnt vmcnt(0)
	v_mul_f64 v[4:5], v[62:63], v[8:9]
	v_fma_f64 v[66:67], v[60:61], v[6:7], -v[4:5]
	v_mul_f64 v[4:5], v[60:61], v[8:9]
	buffer_store_dword v6, off, s[24:27], 0 offset:840 ; 4-byte Folded Spill
	buffer_store_dword v7, off, s[24:27], 0 offset:844 ; 4-byte Folded Spill
	;; [unrolled: 1-line block ×4, first 2 shown]
	v_fma_f64 v[60:61], v[62:63], v[6:7], v[4:5]
	v_mul_u32_u24_sdwa v4, v155, v115 dst_sel:DWORD dst_unused:UNUSED_PAD src0_sel:WORD_0 src1_sel:DWORD
	v_lshrrev_b32_e32 v178, 19, v4
	v_mul_lo_u16 v4, v178, 10
	v_sub_nc_u16 v179, v155, v4
	v_lshlrev_b16 v4, 1, v179
	v_lshlrev_b32_sdwa v6, v128, v4 dst_sel:DWORD dst_unused:UNUSED_PAD src0_sel:DWORD src1_sel:WORD_0
	global_load_dwordx4 v[68:71], v6, s[2:3]
	s_waitcnt vmcnt(0) lgkmcnt(2)
	v_mul_f64 v[4:5], v[58:59], v[70:71]
	v_fma_f64 v[62:63], v[56:57], v[68:69], -v[4:5]
	v_mul_f64 v[4:5], v[56:57], v[70:71]
	buffer_store_dword v68, off, s[24:27], 0 offset:888 ; 4-byte Folded Spill
	buffer_store_dword v69, off, s[24:27], 0 offset:892 ; 4-byte Folded Spill
	;; [unrolled: 1-line block ×4, first 2 shown]
	global_load_dwordx4 v[6:9], v6, s[2:3] offset:16
	v_add_f64 v[56:57], v[120:121], -v[118:119]
	v_fma_f64 v[162:163], v[58:59], v[68:69], v[4:5]
	v_add_f64 v[68:69], v[108:109], -v[96:97]
	s_waitcnt vmcnt(0) lgkmcnt(0)
	v_mul_f64 v[4:5], v[54:55], v[8:9]
	v_fma_f64 v[164:165], v[52:53], v[6:7], -v[4:5]
	v_mul_f64 v[4:5], v[52:53], v[8:9]
	buffer_store_dword v6, off, s[24:27], 0 offset:904 ; 4-byte Folded Spill
	buffer_store_dword v7, off, s[24:27], 0 offset:908 ; 4-byte Folded Spill
	;; [unrolled: 1-line block ×4, first 2 shown]
	v_fma_f64 v[166:167], v[54:55], v[6:7], v[4:5]
	v_mul_u32_u24_sdwa v4, v158, v115 dst_sel:DWORD dst_unused:UNUSED_PAD src0_sel:WORD_0 src1_sel:DWORD
	v_lshrrev_b32_e32 v8, 19, v4
	v_mul_lo_u16 v4, v8, 10
	v_sub_nc_u16 v9, v158, v4
	v_lshlrev_b16 v4, 1, v9
	v_mad_u16 v8, v8, 30, v9
	v_lshlrev_b32_sdwa v6, v128, v4 dst_sel:DWORD dst_unused:UNUSED_PAD src0_sel:DWORD src1_sel:WORD_0
	global_load_dwordx4 v[52:55], v6, s[2:3]
	s_waitcnt vmcnt(0)
	v_mul_f64 v[4:5], v[2:3], v[54:55]
	v_fma_f64 v[4:5], v[0:1], v[52:53], -v[4:5]
	v_mul_f64 v[0:1], v[0:1], v[54:55]
	buffer_store_dword v52, off, s[24:27], 0 offset:952 ; 4-byte Folded Spill
	buffer_store_dword v53, off, s[24:27], 0 offset:956 ; 4-byte Folded Spill
	;; [unrolled: 1-line block ×4, first 2 shown]
	v_fma_f64 v[2:3], v[2:3], v[52:53], v[0:1]
	global_load_dwordx4 v[52:55], v6, s[2:3] offset:16
	s_waitcnt vmcnt(0)
	v_mul_f64 v[0:1], v[22:23], v[54:55]
	v_mul_f64 v[6:7], v[20:21], v[54:55]
	v_fma_f64 v[0:1], v[20:21], v[52:53], -v[0:1]
	buffer_store_dword v52, off, s[24:27], 0 offset:968 ; 4-byte Folded Spill
	buffer_store_dword v53, off, s[24:27], 0 offset:972 ; 4-byte Folded Spill
	;; [unrolled: 1-line block ×4, first 2 shown]
	v_add_f64 v[20:21], v[120:121], v[118:119]
	s_waitcnt_vscnt null, 0x0
	s_barrier
	buffer_gl0_inv
	v_fma_f64 v[6:7], v[22:23], v[52:53], v[6:7]
	v_fma_f64 v[52:53], v[20:21], -0.5, v[48:49]
	v_add_f64 v[20:21], v[116:117], v[112:113]
	v_add_f64 v[48:49], v[48:49], v[120:121]
	v_fma_f64 v[54:55], v[20:21], -0.5, v[50:51]
	v_add_f64 v[20:21], v[50:51], v[116:117]
	v_add_f64 v[50:51], v[116:117], -v[112:113]
	v_add_f64 v[22:23], v[20:21], v[112:113]
	v_add_f64 v[20:21], v[48:49], v[118:119]
	v_fma_f64 v[48:49], v[50:51], s[4:5], v[52:53]
	v_fma_f64 v[52:53], v[50:51], s[12:13], v[52:53]
	;; [unrolled: 1-line block ×4, first 2 shown]
	v_add_f64 v[56:57], v[124:125], v[110:111]
	v_add_f64 v[117:118], v[139:140], -v[143:144]
	v_fma_f64 v[58:59], v[56:57], -0.5, v[44:45]
	v_add_f64 v[56:57], v[108:109], v[96:97]
	v_add_f64 v[44:45], v[44:45], v[124:125]
	v_fma_f64 v[70:71], v[56:57], -0.5, v[46:47]
	v_fma_f64 v[56:57], v[68:69], s[4:5], v[58:59]
	v_fma_f64 v[68:69], v[68:69], s[12:13], v[58:59]
	v_add_f64 v[46:47], v[46:47], v[108:109]
	v_add_f64 v[108:109], v[131:132], -v[135:136]
	v_add_f64 v[44:45], v[44:45], v[110:111]
	v_add_f64 v[110:111], v[141:142], -v[145:146]
	v_fma_f64 v[58:59], v[72:73], s[12:13], v[70:71]
	v_fma_f64 v[70:71], v[72:73], s[4:5], v[70:71]
	v_add_f64 v[72:73], v[98:99], v[94:95]
	v_add_f64 v[46:47], v[46:47], v[96:97]
	v_fma_f64 v[74:75], v[72:73], -0.5, v[40:41]
	v_add_f64 v[72:73], v[92:93], v[10:11]
	v_add_f64 v[40:41], v[40:41], v[98:99]
	v_fma_f64 v[78:79], v[72:73], -0.5, v[42:43]
	v_add_f64 v[42:43], v[42:43], v[92:93]
	v_fma_f64 v[72:73], v[76:77], s[4:5], v[74:75]
	v_fma_f64 v[76:77], v[76:77], s[12:13], v[74:75]
	v_fma_f64 v[92:93], v[80:81], -0.5, v[38:39]
	v_add_f64 v[38:39], v[38:39], v[84:85]
	v_add_f64 v[40:41], v[40:41], v[94:95]
	;; [unrolled: 1-line block ×3, first 2 shown]
	v_add_f64 v[10:11], v[98:99], -v[94:95]
	v_add_f64 v[94:95], v[133:134], -v[137:138]
	v_add_f64 v[38:39], v[38:39], v[129:130]
	v_fma_f64 v[74:75], v[10:11], s[12:13], v[78:79]
	v_fma_f64 v[78:79], v[10:11], s[4:5], v[78:79]
	v_add_f64 v[10:11], v[126:127], v[86:87]
	v_fma_f64 v[10:11], v[10:11], -0.5, v[36:37]
	v_add_f64 v[36:37], v[36:37], v[126:127]
	v_fma_f64 v[80:81], v[82:83], s[4:5], v[10:11]
	v_add_f64 v[36:37], v[36:37], v[86:87]
	v_add_f64 v[86:87], v[126:127], -v[86:87]
	v_fma_f64 v[84:85], v[82:83], s[12:13], v[10:11]
	v_add_f64 v[10:11], v[131:132], v[135:136]
	v_fma_f64 v[82:83], v[86:87], s[12:13], v[92:93]
	v_fma_f64 v[86:87], v[86:87], s[4:5], v[92:93]
	v_add_f64 v[92:93], v[133:134], v[137:138]
	v_fma_f64 v[10:11], v[10:11], -0.5, v[32:33]
	v_add_f64 v[32:33], v[32:33], v[131:132]
	v_fma_f64 v[98:99], v[92:93], -0.5, v[34:35]
	v_fma_f64 v[92:93], v[94:95], s[4:5], v[10:11]
	v_fma_f64 v[96:97], v[94:95], s[12:13], v[10:11]
	v_add_f64 v[10:11], v[139:140], v[143:144]
	v_add_f64 v[34:35], v[34:35], v[133:134]
	;; [unrolled: 1-line block ×3, first 2 shown]
	v_fma_f64 v[94:95], v[108:109], s[12:13], v[98:99]
	v_fma_f64 v[98:99], v[108:109], s[4:5], v[98:99]
	v_add_f64 v[108:109], v[141:142], v[145:146]
	v_fma_f64 v[10:11], v[10:11], -0.5, v[28:29]
	v_add_f64 v[34:35], v[34:35], v[137:138]
	v_add_f64 v[28:29], v[28:29], v[139:140]
	v_fma_f64 v[112:113], v[108:109], -0.5, v[30:31]
	v_fma_f64 v[108:109], v[110:111], s[4:5], v[10:11]
	v_fma_f64 v[115:116], v[110:111], s[12:13], v[10:11]
	v_add_f64 v[10:11], v[151:152], v[66:67]
	v_add_f64 v[30:31], v[30:31], v[141:142]
	;; [unrolled: 1-line block ×3, first 2 shown]
	v_fma_f64 v[110:111], v[117:118], s[12:13], v[112:113]
	v_fma_f64 v[117:118], v[117:118], s[4:5], v[112:113]
	v_add_f64 v[112:113], v[64:65], v[60:61]
	v_fma_f64 v[10:11], v[10:11], -0.5, v[24:25]
	v_add_f64 v[24:25], v[24:25], v[151:152]
	v_add_f64 v[30:31], v[30:31], v[145:146]
	v_fma_f64 v[112:113], v[112:113], -0.5, v[26:27]
	v_add_f64 v[26:27], v[26:27], v[64:65]
	v_add_f64 v[64:65], v[64:65], -v[60:61]
	v_add_f64 v[24:25], v[24:25], v[66:67]
	v_add_f64 v[26:27], v[26:27], v[60:61]
	v_add_f64 v[60:61], v[151:152], -v[66:67]
	v_fma_f64 v[124:125], v[64:65], s[4:5], v[10:11]
	v_fma_f64 v[129:130], v[64:65], s[12:13], v[10:11]
	v_add_f64 v[10:11], v[62:63], v[164:165]
	v_add_f64 v[64:65], v[162:163], -v[166:167]
	v_add_co_ci_u32_e64 v151, null, 0, 0, s14
	v_fma_f64 v[126:127], v[60:61], s[12:13], v[112:113]
	v_fma_f64 v[131:132], v[60:61], s[4:5], v[112:113]
	v_add_f64 v[60:61], v[162:163], v[166:167]
	v_fma_f64 v[10:11], v[10:11], -0.5, v[16:17]
	v_add_f64 v[16:17], v[16:17], v[62:63]
	v_add_f64 v[62:63], v[62:63], -v[164:165]
	v_fma_f64 v[60:61], v[60:61], -0.5, v[18:19]
	v_fma_f64 v[133:134], v[64:65], s[4:5], v[10:11]
	v_fma_f64 v[137:138], v[64:65], s[12:13], v[10:11]
	v_add_f64 v[10:11], v[4:5], v[0:1]
	v_add_f64 v[18:19], v[18:19], v[162:163]
	;; [unrolled: 1-line block ×3, first 2 shown]
	v_fma_f64 v[135:136], v[62:63], s[12:13], v[60:61]
	v_fma_f64 v[139:140], v[62:63], s[4:5], v[60:61]
	v_add_f64 v[60:61], v[2:3], v[6:7]
	v_fma_f64 v[10:11], v[10:11], -0.5, v[12:13]
	v_add_f64 v[18:19], v[18:19], v[166:167]
	v_fma_f64 v[62:63], v[60:61], -0.5, v[14:15]
	v_add_f64 v[60:61], v[2:3], -v[6:7]
	v_fma_f64 v[64:65], v[60:61], s[4:5], v[10:11]
	v_fma_f64 v[60:61], v[60:61], s[12:13], v[10:11]
	v_add_f64 v[10:11], v[4:5], -v[0:1]
	v_fma_f64 v[66:67], v[10:11], s[12:13], v[62:63]
	v_fma_f64 v[62:63], v[10:11], s[4:5], v[62:63]
	v_mov_b32_e32 v10, 30
	v_mul_u32_u24_sdwa v11, v122, v10 dst_sel:DWORD dst_unused:UNUSED_PAD src0_sel:WORD_0 src1_sel:DWORD
	v_mul_u32_u24_sdwa v10, v147, v10 dst_sel:DWORD dst_unused:UNUSED_PAD src0_sel:WORD_0 src1_sel:DWORD
	v_add_lshl_u32 v11, v11, v123, 4
	v_add_lshl_u32 v10, v10, v153, 4
	ds_write_b128 v11, v[20:23]
	ds_write_b128 v11, v[48:51] offset:160
	buffer_store_dword v11, off, s[24:27], 0 offset:432 ; 4-byte Folded Spill
	ds_write_b128 v11, v[52:55] offset:320
	ds_write_b128 v10, v[44:47]
	ds_write_b128 v10, v[56:59] offset:160
	buffer_store_dword v10, off, s[24:27], 0 offset:428 ; 4-byte Folded Spill
	ds_write_b128 v10, v[68:71] offset:320
	v_mad_u16 v10, v159, 30, v169
	v_add_co_ci_u32_e64 v169, null, 0, 0, s1
	v_lshlrev_b32_sdwa v10, v128, v10 dst_sel:DWORD dst_unused:UNUSED_PAD src0_sel:DWORD src1_sel:WORD_0
	ds_write_b128 v10, v[40:43]
	ds_write_b128 v10, v[72:75] offset:160
	buffer_store_dword v10, off, s[24:27], 0 offset:424 ; 4-byte Folded Spill
	ds_write_b128 v10, v[76:79] offset:320
	v_mad_u16 v10, v170, 30, v171
	v_lshlrev_b32_sdwa v10, v128, v10 dst_sel:DWORD dst_unused:UNUSED_PAD src0_sel:DWORD src1_sel:WORD_0
	ds_write_b128 v10, v[36:39]
	ds_write_b128 v10, v[80:83] offset:160
	buffer_store_dword v10, off, s[24:27], 0 offset:420 ; 4-byte Folded Spill
	ds_write_b128 v10, v[84:87] offset:320
	v_mad_u16 v10, v172, 30, v173
	;; [unrolled: 6-line block ×5, first 2 shown]
	v_lshlrev_b32_sdwa v10, v128, v10 dst_sel:DWORD dst_unused:UNUSED_PAD src0_sel:DWORD src1_sel:WORD_0
	ds_write_b128 v10, v[16:19]
	ds_write_b128 v10, v[133:136] offset:160
	buffer_store_dword v10, off, s[24:27], 0 offset:404 ; 4-byte Folded Spill
	ds_write_b128 v10, v[137:140] offset:320
	buffer_store_dword v8, off, s[24:27], 0 offset:480 ; 4-byte Folded Spill
	s_and_saveexec_b32 s1, s0
	s_cbranch_execz .LBB0_11
; %bb.10:
	v_add_f64 v[4:5], v[12:13], v[4:5]
	v_add_f64 v[2:3], v[14:15], v[2:3]
	;; [unrolled: 1-line block ×3, first 2 shown]
	buffer_load_dword v4, off, s[24:27], 0 offset:480 ; 4-byte Folded Reload
	v_add_f64 v[2:3], v[2:3], v[6:7]
	s_waitcnt vmcnt(0)
	v_lshlrev_b32_sdwa v4, v128, v4 dst_sel:DWORD dst_unused:UNUSED_PAD src0_sel:DWORD src1_sel:WORD_0
	ds_write_b128 v4, v[64:67] offset:160
	ds_write_b128 v4, v[0:3]
	ds_write_b128 v4, v[60:63] offset:320
.LBB0_11:
	s_or_b32 exec_lo, exec_lo, s1
	buffer_load_dword v2, off, s[24:27], 0  ; 4-byte Folded Reload
	v_mul_lo_u16 v0, 0x89, v114
	s_waitcnt vmcnt(0) lgkmcnt(0)
	s_waitcnt_vscnt null, 0x0
	s_barrier
	buffer_gl0_inv
	v_mov_b32_e32 v84, 0x8889
	v_lshrrev_b16 v36, 12, v0
	s_mov_b32 s14, 0x134454ff
	s_mov_b32 s15, 0x3fee6f0e
	;; [unrolled: 1-line block ×4, first 2 shown]
	v_mul_lo_u16 v1, v36, 30
	s_mov_b32 s4, 0x4755a5e
	s_mov_b32 s5, 0x3fe2cf23
	;; [unrolled: 1-line block ×4, first 2 shown]
	v_sub_nc_u16 v1, v161, v1
	s_mov_b32 s18, 0x372fe950
	s_mov_b32 s19, 0x3fd3c6ef
	v_and_b32_e32 v37, 0xff, v1
	v_lshlrev_b32_e32 v1, 6, v37
	s_clause 0x3
	global_load_dwordx4 v[92:95], v1, s[2:3] offset:320
	global_load_dwordx4 v[70:73], v1, s[2:3] offset:336
	;; [unrolled: 1-line block ×4, first 2 shown]
	v_mul_u32_u24_sdwa v1, v160, v84 dst_sel:DWORD dst_unused:UNUSED_PAD src0_sel:WORD_0 src1_sel:DWORD
	v_lshrrev_b32_e32 v38, 20, v1
	v_mul_lo_u16 v1, v38, 30
	v_sub_nc_u16 v39, v160, v1
	v_and_b32_e32 v0, 0xff, v2
	v_mul_lo_u16 v0, 0x89, v0
	v_lshrrev_b16 v44, 12, v0
	v_mul_lo_u16 v0, v44, 30
	v_sub_nc_u16 v0, v2, v0
	v_and_b32_e32 v45, 0xff, v0
	v_lshlrev_b32_e32 v0, 6, v45
	s_clause 0x3
	global_load_dwordx4 v[133:136], v0, s[2:3] offset:320
	global_load_dwordx4 v[129:132], v0, s[2:3] offset:336
	;; [unrolled: 1-line block ×4, first 2 shown]
	v_lshlrev_b16 v0, 6, v39
	v_and_b32_e32 v0, 0xffff, v0
	v_add_co_u32 v0, s1, s2, v0
	v_add_co_ci_u32_e64 v1, null, s3, 0, s1
	s_clause 0x3
	global_load_dwordx4 v[116:119], v[0:1], off offset:320
	global_load_dwordx4 v[112:115], v[0:1], off offset:336
	;; [unrolled: 1-line block ×4, first 2 shown]
	ds_read_b128 v[0:3], v148 offset:8640
	ds_read_b128 v[4:7], v148 offset:15840
	;; [unrolled: 1-line block ×8, first 2 shown]
	s_waitcnt vmcnt(11) lgkmcnt(7)
	v_mul_f64 v[8:9], v[2:3], v[94:95]
	v_mul_f64 v[12:13], v[0:1], v[94:95]
	s_waitcnt vmcnt(10) lgkmcnt(6)
	v_mul_f64 v[14:15], v[6:7], v[72:73]
	v_mul_f64 v[28:29], v[4:5], v[72:73]
	;; [unrolled: 3-line block ×4, first 2 shown]
	v_fma_f64 v[10:11], v[0:1], v[92:93], -v[8:9]
	buffer_store_dword v92, off, s[24:27], 0 offset:612 ; 4-byte Folded Spill
	buffer_store_dword v93, off, s[24:27], 0 offset:616 ; 4-byte Folded Spill
	;; [unrolled: 1-line block ×4, first 2 shown]
	v_fma_f64 v[30:31], v[4:5], v[70:71], -v[14:15]
	s_waitcnt vmcnt(7) lgkmcnt(3)
	v_mul_f64 v[58:59], v[26:27], v[135:136]
	v_mul_f64 v[68:69], v[24:25], v[135:136]
	v_fma_f64 v[24:25], v[24:25], v[133:134], -v[58:59]
	v_fma_f64 v[8:9], v[2:3], v[92:93], v[12:13]
	ds_read_b128 v[0:3], v148 offset:10080
	buffer_store_dword v70, off, s[24:27], 0 offset:596 ; 4-byte Folded Spill
	buffer_store_dword v71, off, s[24:27], 0 offset:600 ; 4-byte Folded Spill
	;; [unrolled: 1-line block ×4, first 2 shown]
	s_waitcnt vmcnt(6) lgkmcnt(3)
	v_mul_f64 v[72:73], v[40:41], v[131:132]
	v_fma_f64 v[14:15], v[6:7], v[70:71], v[28:29]
	v_fma_f64 v[28:29], v[16:17], v[74:75], -v[32:33]
	buffer_store_dword v74, off, s[24:27], 0 offset:580 ; 4-byte Folded Spill
	buffer_store_dword v75, off, s[24:27], 0 offset:584 ; 4-byte Folded Spill
	;; [unrolled: 1-line block ×4, first 2 shown]
	v_mul_f64 v[70:71], v[42:43], v[131:132]
	s_waitcnt vmcnt(5) lgkmcnt(2)
	v_mul_f64 v[76:77], v[46:47], v[126:127]
	v_fma_f64 v[58:59], v[40:41], v[129:130], -v[70:71]
	s_waitcnt vmcnt(3) lgkmcnt(0)
	v_mul_f64 v[40:41], v[2:3], v[118:119]
	v_add_f64 v[139:140], v[58:59], -v[24:25]
	v_fma_f64 v[82:83], v[0:1], v[116:117], -v[40:41]
	v_fma_f64 v[12:13], v[18:19], v[74:75], v[34:35]
	v_fma_f64 v[34:35], v[20:21], v[78:79], -v[54:55]
	buffer_store_dword v78, off, s[24:27], 0 offset:564 ; 4-byte Folded Spill
	buffer_store_dword v79, off, s[24:27], 0 offset:568 ; 4-byte Folded Spill
	;; [unrolled: 1-line block ×8, first 2 shown]
	ds_read_b128 v[4:7], v148 offset:17280
	buffer_store_dword v129, off, s[24:27], 0 offset:824 ; 4-byte Folded Spill
	buffer_store_dword v130, off, s[24:27], 0 offset:828 ; 4-byte Folded Spill
	;; [unrolled: 1-line block ×4, first 2 shown]
	v_mul_f64 v[74:75], v[48:49], v[126:127]
	v_mul_f64 v[54:55], v[52:53], v[122:123]
	ds_read_b128 v[16:19], v148 offset:24480
	v_add_f64 v[135:136], v[30:31], -v[10:11]
	v_add_f64 v[131:132], v[10:11], -v[34:35]
	s_waitcnt vmcnt(1) lgkmcnt(0)
	v_mul_f64 v[40:41], v[18:19], v[110:111]
	v_fma_f64 v[70:71], v[16:17], v[108:109], -v[40:41]
	v_fma_f64 v[32:33], v[22:23], v[78:79], v[56:57]
	v_fma_f64 v[20:21], v[26:27], v[133:134], v[68:69]
	v_fma_f64 v[26:27], v[46:47], v[124:125], -v[74:75]
	buffer_store_dword v124, off, s[24:27], 0 offset:808 ; 4-byte Folded Spill
	buffer_store_dword v125, off, s[24:27], 0 offset:812 ; 4-byte Folded Spill
	;; [unrolled: 1-line block ×4, first 2 shown]
	v_mul_f64 v[78:79], v[50:51], v[122:123]
	v_fma_f64 v[56:57], v[42:43], v[129:130], v[72:73]
	v_mul_f64 v[42:43], v[0:1], v[118:119]
	v_fma_f64 v[74:75], v[50:51], v[120:121], -v[54:55]
	buffer_store_dword v120, off, s[24:27], 0 offset:760 ; 4-byte Folded Spill
	buffer_store_dword v121, off, s[24:27], 0 offset:764 ; 4-byte Folded Spill
	;; [unrolled: 1-line block ×8, first 2 shown]
	v_mul_f64 v[46:47], v[6:7], v[114:115]
	v_add_f64 v[129:130], v[14:15], -v[12:13]
	v_add_f64 v[133:134], v[30:31], -v[28:29]
	;; [unrolled: 1-line block ×4, first 2 shown]
	v_fma_f64 v[80:81], v[4:5], v[112:113], -v[46:47]
	v_add_f64 v[145:146], v[80:81], -v[70:71]
	v_fma_f64 v[22:23], v[48:49], v[124:125], v[76:77]
	v_mul_f64 v[48:49], v[4:5], v[114:115]
	buffer_store_dword v112, off, s[24:27], 0 offset:724 ; 4-byte Folded Spill
	buffer_store_dword v113, off, s[24:27], 0 offset:728 ; 4-byte Folded Spill
	;; [unrolled: 1-line block ×4, first 2 shown]
	v_fma_f64 v[72:73], v[52:53], v[120:121], v[78:79]
	v_fma_f64 v[76:77], v[2:3], v[116:117], v[42:43]
	v_mul_f64 v[42:43], v[16:17], v[110:111]
	ds_read_b128 v[0:3], v148 offset:31680
	buffer_store_dword v108, off, s[24:27], 0 offset:676 ; 4-byte Folded Spill
	buffer_store_dword v109, off, s[24:27], 0 offset:680 ; 4-byte Folded Spill
	;; [unrolled: 1-line block ×4, first 2 shown]
	v_mul_u32_u24_sdwa v16, v150, v84 dst_sel:DWORD dst_unused:UNUSED_PAD src0_sel:WORD_0 src1_sel:DWORD
	v_lshrrev_b32_e32 v40, 20, v16
	s_waitcnt vmcnt(0) lgkmcnt(0)
	v_mul_f64 v[4:5], v[2:3], v[98:99]
	v_fma_f64 v[78:79], v[6:7], v[112:113], v[48:49]
	v_mul_f64 v[6:7], v[0:1], v[98:99]
	v_fma_f64 v[68:69], v[18:19], v[108:109], v[42:43]
	v_fma_f64 v[18:19], v[0:1], v[96:97], -v[4:5]
	v_mul_lo_u16 v0, v40, 30
	buffer_store_dword v96, off, s[24:27], 0 offset:660 ; 4-byte Folded Spill
	buffer_store_dword v97, off, s[24:27], 0 offset:664 ; 4-byte Folded Spill
	;; [unrolled: 1-line block ×4, first 2 shown]
	v_sub_nc_u16 v41, v150, v0
	v_lshlrev_b16 v0, 6, v41
	v_and_b32_e32 v0, 0xffff, v0
	v_add_co_u32 v4, s1, s2, v0
	v_add_co_ci_u32_e64 v5, null, s3, 0, s1
	v_add_f64 v[143:144], v[82:83], -v[18:19]
	v_add_f64 v[141:142], v[78:79], -v[68:69]
	global_load_dwordx4 v[46:49], v[4:5], off offset:320
	v_fma_f64 v[16:17], v[2:3], v[96:97], v[6:7]
	ds_read_b128 v[0:3], v148 offset:11520
	s_waitcnt vmcnt(0) lgkmcnt(0)
	v_mul_f64 v[6:7], v[2:3], v[48:49]
	v_fma_f64 v[98:99], v[0:1], v[46:47], -v[6:7]
	v_mul_f64 v[0:1], v[0:1], v[48:49]
	buffer_store_dword v46, off, s[24:27], 0 offset:1160 ; 4-byte Folded Spill
	buffer_store_dword v47, off, s[24:27], 0 offset:1164 ; 4-byte Folded Spill
	;; [unrolled: 1-line block ×4, first 2 shown]
	v_fma_f64 v[96:97], v[2:3], v[46:47], v[0:1]
	global_load_dwordx4 v[46:49], v[4:5], off offset:336
	ds_read_b128 v[0:3], v148 offset:18720
	s_waitcnt vmcnt(0) lgkmcnt(0)
	v_mul_f64 v[6:7], v[2:3], v[48:49]
	v_fma_f64 v[112:113], v[0:1], v[46:47], -v[6:7]
	v_mul_f64 v[0:1], v[0:1], v[48:49]
	buffer_store_dword v46, off, s[24:27], 0 offset:1144 ; 4-byte Folded Spill
	buffer_store_dword v47, off, s[24:27], 0 offset:1148 ; 4-byte Folded Spill
	;; [unrolled: 1-line block ×4, first 2 shown]
	v_fma_f64 v[114:115], v[2:3], v[46:47], v[0:1]
	global_load_dwordx4 v[46:49], v[4:5], off offset:352
	ds_read_b128 v[0:3], v148 offset:25920
	s_waitcnt vmcnt(0) lgkmcnt(0)
	v_mul_f64 v[6:7], v[2:3], v[48:49]
	v_fma_f64 v[118:119], v[0:1], v[46:47], -v[6:7]
	v_mul_f64 v[0:1], v[0:1], v[48:49]
	buffer_store_dword v46, off, s[24:27], 0 offset:1176 ; 4-byte Folded Spill
	buffer_store_dword v47, off, s[24:27], 0 offset:1180 ; 4-byte Folded Spill
	;; [unrolled: 1-line block ×4, first 2 shown]
	v_add_f64 v[152:153], v[112:113], -v[118:119]
	v_fma_f64 v[116:117], v[2:3], v[46:47], v[0:1]
	global_load_dwordx4 v[46:49], v[4:5], off offset:368
	ds_read_b128 v[0:3], v148 offset:33120
	s_waitcnt vmcnt(0) lgkmcnt(0)
	v_mul_f64 v[4:5], v[2:3], v[48:49]
	v_fma_f64 v[120:121], v[0:1], v[46:47], -v[4:5]
	v_mul_f64 v[0:1], v[0:1], v[48:49]
	buffer_store_dword v46, off, s[24:27], 0 offset:1192 ; 4-byte Folded Spill
	buffer_store_dword v47, off, s[24:27], 0 offset:1196 ; 4-byte Folded Spill
	;; [unrolled: 1-line block ×4, first 2 shown]
	v_fma_f64 v[122:123], v[2:3], v[46:47], v[0:1]
	v_mul_u32_u24_sdwa v0, v168, v84 dst_sel:DWORD dst_unused:UNUSED_PAD src0_sel:WORD_0 src1_sel:DWORD
	v_lshrrev_b32_e32 v42, 20, v0
	v_mul_lo_u16 v0, v42, 30
	v_sub_nc_u16 v43, v168, v0
	v_lshlrev_b16 v0, 6, v43
	v_and_b32_e32 v0, 0xffff, v0
	v_add_co_u32 v4, s1, s2, v0
	v_add_co_ci_u32_e64 v5, null, s3, 0, s1
	ds_read_b128 v[0:3], v148 offset:12960
	global_load_dwordx4 v[46:49], v[4:5], off offset:320
	s_waitcnt vmcnt(0) lgkmcnt(0)
	v_mul_f64 v[6:7], v[2:3], v[48:49]
	v_fma_f64 v[86:87], v[0:1], v[46:47], -v[6:7]
	v_mul_f64 v[0:1], v[0:1], v[48:49]
	buffer_store_dword v46, off, s[24:27], 0 offset:1252 ; 4-byte Folded Spill
	buffer_store_dword v47, off, s[24:27], 0 offset:1256 ; 4-byte Folded Spill
	buffer_store_dword v48, off, s[24:27], 0 offset:1260 ; 4-byte Folded Spill
	buffer_store_dword v49, off, s[24:27], 0 offset:1264 ; 4-byte Folded Spill
	v_fma_f64 v[84:85], v[2:3], v[46:47], v[0:1]
	global_load_dwordx4 v[46:49], v[4:5], off offset:336
	ds_read_b128 v[0:3], v148 offset:20160
	s_waitcnt vmcnt(0) lgkmcnt(0)
	v_mul_f64 v[6:7], v[2:3], v[48:49]
	v_fma_f64 v[92:93], v[0:1], v[46:47], -v[6:7]
	v_mul_f64 v[0:1], v[0:1], v[48:49]
	buffer_store_dword v46, off, s[24:27], 0 offset:1268 ; 4-byte Folded Spill
	buffer_store_dword v47, off, s[24:27], 0 offset:1272 ; 4-byte Folded Spill
	buffer_store_dword v48, off, s[24:27], 0 offset:1276 ; 4-byte Folded Spill
	buffer_store_dword v49, off, s[24:27], 0 offset:1280 ; 4-byte Folded Spill
	v_fma_f64 v[94:95], v[2:3], v[46:47], v[0:1]
	global_load_dwordx4 v[46:49], v[4:5], off offset:352
	ds_read_b128 v[0:3], v148 offset:27360
	s_waitcnt vmcnt(0) lgkmcnt(0)
	v_mul_f64 v[6:7], v[2:3], v[48:49]
	v_fma_f64 v[110:111], v[0:1], v[46:47], -v[6:7]
	v_mul_f64 v[0:1], v[0:1], v[48:49]
	buffer_store_dword v46, off, s[24:27], 0 offset:1284 ; 4-byte Folded Spill
	buffer_store_dword v47, off, s[24:27], 0 offset:1288 ; 4-byte Folded Spill
	buffer_store_dword v48, off, s[24:27], 0 offset:1292 ; 4-byte Folded Spill
	buffer_store_dword v49, off, s[24:27], 0 offset:1296 ; 4-byte Folded Spill
	v_fma_f64 v[108:109], v[2:3], v[46:47], v[0:1]
	global_load_dwordx4 v[46:49], v[4:5], off offset:368
	ds_read_b128 v[0:3], v148 offset:34560
	s_waitcnt vmcnt(0) lgkmcnt(0)
	v_mul_f64 v[4:5], v[2:3], v[48:49]
	v_fma_f64 v[124:125], v[0:1], v[46:47], -v[4:5]
	v_mul_f64 v[0:1], v[0:1], v[48:49]
	buffer_store_dword v46, off, s[24:27], 0 offset:1300 ; 4-byte Folded Spill
	buffer_store_dword v47, off, s[24:27], 0 offset:1304 ; 4-byte Folded Spill
	;; [unrolled: 1-line block ×4, first 2 shown]
	v_fma_f64 v[126:127], v[2:3], v[46:47], v[0:1]
	v_add_f64 v[0:1], v[10:11], -v[30:31]
	v_add_f64 v[2:3], v[34:35], -v[28:29]
	ds_read_b128 v[46:49], v148 offset:1440
	v_add_f64 v[4:5], v[0:1], v[2:3]
	v_add_f64 v[0:1], v[8:9], -v[14:15]
	v_add_f64 v[2:3], v[32:33], -v[12:13]
	v_add_f64 v[6:7], v[0:1], v[2:3]
	v_add_f64 v[0:1], v[30:31], v[28:29]
	s_waitcnt lgkmcnt(0)
	v_fma_f64 v[50:51], v[0:1], -0.5, v[46:47]
	v_add_f64 v[0:1], v[14:15], v[12:13]
	v_fma_f64 v[52:53], v[0:1], -0.5, v[48:49]
	v_fma_f64 v[0:1], v[54:55], s[14:15], v[50:51]
	v_fma_f64 v[50:51], v[54:55], s[16:17], v[50:51]
	v_fma_f64 v[2:3], v[131:132], s[16:17], v[52:53]
	v_fma_f64 v[52:53], v[131:132], s[14:15], v[52:53]
	v_fma_f64 v[0:1], v[129:130], s[4:5], v[0:1]
	v_fma_f64 v[50:51], v[129:130], s[12:13], v[50:51]
	v_fma_f64 v[2:3], v[133:134], s[12:13], v[2:3]
	v_fma_f64 v[52:53], v[133:134], s[4:5], v[52:53]
	v_fma_f64 v[0:1], v[4:5], s[18:19], v[0:1]
	v_fma_f64 v[4:5], v[4:5], s[18:19], v[50:51]
	v_add_f64 v[50:51], v[10:11], v[34:35]
	v_fma_f64 v[2:3], v[6:7], s[18:19], v[2:3]
	v_fma_f64 v[6:7], v[6:7], s[18:19], v[52:53]
	v_add_f64 v[52:53], v[8:9], v[32:33]
	v_fma_f64 v[50:51], v[50:51], -0.5, v[46:47]
	v_add_f64 v[46:47], v[46:47], v[10:11]
	v_fma_f64 v[52:53], v[52:53], -0.5, v[48:49]
	v_add_f64 v[48:49], v[48:49], v[8:9]
	v_add_f64 v[10:11], v[46:47], v[30:31]
	v_fma_f64 v[46:47], v[133:134], s[16:17], v[52:53]
	v_add_f64 v[30:31], v[48:49], v[14:15]
	v_add_f64 v[14:15], v[14:15], -v[8:9]
	v_add_f64 v[8:9], v[10:11], v[28:29]
	v_add_f64 v[28:29], v[28:29], -v[34:35]
	v_add_f64 v[10:11], v[30:31], v[12:13]
	v_add_f64 v[12:13], v[12:13], -v[32:33]
	v_fma_f64 v[30:31], v[129:130], s[16:17], v[50:51]
	v_add_f64 v[8:9], v[8:9], v[34:35]
	v_fma_f64 v[34:35], v[133:134], s[14:15], v[52:53]
	v_add_f64 v[28:29], v[135:136], v[28:29]
	v_add_f64 v[135:136], v[24:25], -v[74:75]
	v_add_f64 v[133:134], v[56:57], -v[22:23]
	v_add_f64 v[10:11], v[10:11], v[32:33]
	v_fma_f64 v[32:33], v[129:130], s[14:15], v[50:51]
	v_add_f64 v[48:49], v[14:15], v[12:13]
	v_fma_f64 v[12:13], v[54:55], s[4:5], v[30:31]
	v_fma_f64 v[14:15], v[131:132], s[12:13], v[34:35]
	v_add_f64 v[34:35], v[74:75], -v[26:27]
	v_fma_f64 v[30:31], v[54:55], s[12:13], v[32:33]
	v_fma_f64 v[32:33], v[131:132], s[4:5], v[46:47]
	;; [unrolled: 1-line block ×4, first 2 shown]
	v_add_f64 v[131:132], v[20:21], -v[72:73]
	v_fma_f64 v[28:29], v[28:29], s[18:19], v[30:31]
	v_fma_f64 v[30:31], v[48:49], s[18:19], v[32:33]
	v_add_f64 v[32:33], v[24:25], -v[58:59]
	ds_read_b128 v[46:49], v148
	v_add_f64 v[50:51], v[32:33], v[34:35]
	v_add_f64 v[32:33], v[20:21], -v[56:57]
	v_add_f64 v[34:35], v[72:73], -v[22:23]
	v_add_f64 v[54:55], v[32:33], v[34:35]
	v_add_f64 v[32:33], v[58:59], v[26:27]
	s_waitcnt lgkmcnt(0)
	v_fma_f64 v[52:53], v[32:33], -0.5, v[46:47]
	v_add_f64 v[32:33], v[56:57], v[22:23]
	v_fma_f64 v[129:130], v[32:33], -0.5, v[48:49]
	v_fma_f64 v[32:33], v[131:132], s[14:15], v[52:53]
	v_fma_f64 v[52:53], v[131:132], s[16:17], v[52:53]
	;; [unrolled: 1-line block ×10, first 2 shown]
	v_add_f64 v[50:51], v[24:25], v[74:75]
	v_fma_f64 v[34:35], v[54:55], s[18:19], v[34:35]
	v_fma_f64 v[54:55], v[54:55], s[18:19], v[129:130]
	v_add_f64 v[129:130], v[20:21], v[72:73]
	v_fma_f64 v[50:51], v[50:51], -0.5, v[46:47]
	v_add_f64 v[46:47], v[46:47], v[24:25]
	v_fma_f64 v[129:130], v[129:130], -0.5, v[48:49]
	v_add_f64 v[48:49], v[48:49], v[20:21]
	v_add_f64 v[20:21], v[56:57], -v[20:21]
	v_add_f64 v[24:25], v[46:47], v[58:59]
	v_fma_f64 v[58:59], v[137:138], s[16:17], v[129:130]
	v_add_f64 v[46:47], v[48:49], v[56:57]
	v_add_f64 v[48:49], v[26:27], -v[74:75]
	v_add_f64 v[24:25], v[24:25], v[26:27]
	v_fma_f64 v[56:57], v[137:138], s[14:15], v[129:130]
	;; [unrolled: 4-line block ×4, first 2 shown]
	v_fma_f64 v[50:51], v[133:134], s[14:15], v[50:51]
	v_add_f64 v[20:21], v[20:21], v[22:23]
	v_fma_f64 v[22:23], v[131:132], s[4:5], v[46:47]
	v_fma_f64 v[46:47], v[131:132], s[12:13], v[50:51]
	;; [unrolled: 1-line block ×7, first 2 shown]
	v_mov_b32_e32 v20, 0x96
	v_mul_u32_u24_sdwa v21, v44, v20 dst_sel:DWORD dst_unused:UNUSED_PAD src0_sel:WORD_0 src1_sel:DWORD
	v_mul_u32_u24_sdwa v20, v36, v20 dst_sel:DWORD dst_unused:UNUSED_PAD src0_sel:WORD_0 src1_sel:DWORD
	v_add_lshl_u32 v147, v21, v45, 4
	ds_read_b128 v[44:47], v148 offset:2880
	ds_read_b128 v[48:51], v148 offset:4320
	;; [unrolled: 1-line block ×3, first 2 shown]
	s_waitcnt lgkmcnt(0)
	s_waitcnt_vscnt null, 0x0
	s_barrier
	buffer_gl0_inv
	ds_write_b128 v147, v[24:27]
	v_add_f64 v[21:22], v[82:83], -v[80:81]
	v_add_f64 v[23:24], v[18:19], -v[70:71]
	v_add_lshl_u32 v20, v20, v37, 4
	ds_write_b128 v147, v[32:35] offset:480
	ds_write_b128 v147, v[56:59] offset:960
	;; [unrolled: 1-line block ×3, first 2 shown]
	buffer_store_dword v147, off, s[24:27], 0 offset:400 ; 4-byte Folded Spill
	ds_write_b128 v147, v[52:55] offset:1920
	ds_write_b128 v20, v[8:11]
	ds_write_b128 v20, v[0:3] offset:480
	ds_write_b128 v20, v[12:15] offset:960
	;; [unrolled: 1-line block ×3, first 2 shown]
	v_mad_u16 v0, 0x96, v38, v39
	buffer_store_dword v20, off, s[24:27], 0 offset:488 ; 4-byte Folded Spill
	ds_write_b128 v20, v[4:7] offset:1920
	v_lshlrev_b32_sdwa v0, v128, v0 dst_sel:DWORD dst_unused:UNUSED_PAD src0_sel:DWORD src1_sel:WORD_0
	v_add_f64 v[25:26], v[21:22], v[23:24]
	v_add_f64 v[21:22], v[76:77], -v[78:79]
	v_add_f64 v[23:24], v[16:17], -v[68:69]
	v_add_f64 v[135:136], v[21:22], v[23:24]
	v_add_f64 v[21:22], v[80:81], v[70:71]
	v_fma_f64 v[133:134], v[21:22], -0.5, v[44:45]
	v_add_f64 v[21:22], v[78:79], v[68:69]
	v_fma_f64 v[137:138], v[21:22], -0.5, v[46:47]
	v_fma_f64 v[21:22], v[139:140], s[14:15], v[133:134]
	v_fma_f64 v[133:134], v[139:140], s[16:17], v[133:134]
	;; [unrolled: 1-line block ×10, first 2 shown]
	v_add_f64 v[25:26], v[82:83], v[18:19]
	v_fma_f64 v[23:24], v[135:136], s[18:19], v[23:24]
	v_fma_f64 v[135:136], v[135:136], s[18:19], v[137:138]
	v_add_f64 v[137:138], v[76:77], v[16:17]
	v_fma_f64 v[25:26], v[25:26], -0.5, v[44:45]
	v_add_f64 v[44:45], v[44:45], v[82:83]
	v_add_f64 v[82:83], v[80:81], -v[82:83]
	v_fma_f64 v[137:138], v[137:138], -0.5, v[46:47]
	v_add_f64 v[46:47], v[46:47], v[76:77]
	v_add_f64 v[76:77], v[78:79], -v[76:77]
	v_add_f64 v[44:45], v[44:45], v[80:81]
	v_add_f64 v[46:47], v[46:47], v[78:79]
	v_fma_f64 v[78:79], v[145:146], s[16:17], v[137:138]
	v_add_f64 v[44:45], v[44:45], v[70:71]
	v_add_f64 v[70:71], v[70:71], -v[18:19]
	v_add_f64 v[46:47], v[46:47], v[68:69]
	v_add_f64 v[44:45], v[44:45], v[18:19]
	v_fma_f64 v[18:19], v[141:142], s[16:17], v[25:26]
	v_fma_f64 v[25:26], v[141:142], s[14:15], v[25:26]
	v_add_f64 v[70:71], v[82:83], v[70:71]
	v_add_f64 v[141:142], v[96:97], -v[122:123]
	v_add_f64 v[46:47], v[46:47], v[16:17]
	v_add_f64 v[16:17], v[68:69], -v[16:17]
	v_fma_f64 v[68:69], v[145:146], s[14:15], v[137:138]
	v_add_f64 v[145:146], v[98:99], -v[120:121]
	v_fma_f64 v[25:26], v[139:140], s[12:13], v[25:26]
	v_add_f64 v[80:81], v[76:77], v[16:17]
	v_fma_f64 v[16:17], v[139:140], s[4:5], v[18:19]
	v_fma_f64 v[18:19], v[143:144], s[12:13], v[68:69]
	;; [unrolled: 1-line block ×4, first 2 shown]
	v_add_f64 v[25:26], v[98:99], -v[112:113]
	v_add_f64 v[143:144], v[114:115], -v[116:117]
	v_fma_f64 v[16:17], v[70:71], s[18:19], v[16:17]
	v_fma_f64 v[18:19], v[80:81], s[18:19], v[18:19]
	;; [unrolled: 1-line block ×3, first 2 shown]
	v_add_f64 v[68:69], v[120:121], -v[118:119]
	v_add_f64 v[70:71], v[122:123], -v[116:117]
	v_add_f64 v[80:81], v[114:115], v[116:117]
	ds_write_b128 v0, v[44:47]
	ds_write_b128 v0, v[21:24] offset:480
	ds_write_b128 v0, v[16:19] offset:960
	;; [unrolled: 1-line block ×3, first 2 shown]
	buffer_store_dword v0, off, s[24:27], 0 offset:484 ; 4-byte Folded Spill
	ds_write_b128 v0, v[133:136] offset:1920
	v_mad_u16 v0, 0x96, v40, v41
	v_add_f64 v[25:26], v[25:26], v[68:69]
	v_add_f64 v[68:69], v[96:97], -v[114:115]
	v_fma_f64 v[137:138], v[80:81], -0.5, v[50:51]
	v_lshlrev_b32_sdwa v1, v128, v0 dst_sel:DWORD dst_unused:UNUSED_PAD src0_sel:DWORD src1_sel:WORD_0
	v_mad_u16 v0, 0x96, v42, v43
	v_lshlrev_b32_sdwa v0, v128, v0 dst_sel:DWORD dst_unused:UNUSED_PAD src0_sel:DWORD src1_sel:WORD_0
	v_add_f64 v[68:69], v[68:69], v[70:71]
	v_add_f64 v[70:71], v[112:113], v[118:119]
	v_fma_f64 v[82:83], v[145:146], s[16:17], v[137:138]
	v_fma_f64 v[137:138], v[145:146], s[14:15], v[137:138]
	v_fma_f64 v[70:71], v[70:71], -0.5, v[48:49]
	v_fma_f64 v[82:83], v[152:153], s[12:13], v[82:83]
	v_fma_f64 v[139:140], v[152:153], s[4:5], v[137:138]
	;; [unrolled: 1-line block ×6, first 2 shown]
	v_add_f64 v[68:69], v[96:97], v[122:123]
	v_fma_f64 v[80:81], v[143:144], s[4:5], v[80:81]
	v_fma_f64 v[70:71], v[143:144], s[12:13], v[70:71]
	v_fma_f64 v[68:69], v[68:69], -0.5, v[50:51]
	v_add_f64 v[50:51], v[50:51], v[96:97]
	v_add_f64 v[96:97], v[114:115], -v[96:97]
	v_fma_f64 v[80:81], v[25:26], s[18:19], v[80:81]
	v_fma_f64 v[137:138], v[25:26], s[18:19], v[70:71]
	v_add_f64 v[25:26], v[98:99], v[120:121]
	v_add_f64 v[70:71], v[112:113], -v[98:99]
	v_add_f64 v[50:51], v[50:51], v[114:115]
	v_fma_f64 v[25:26], v[25:26], -0.5, v[48:49]
	v_add_f64 v[48:49], v[48:49], v[98:99]
	v_add_f64 v[98:99], v[118:119], -v[120:121]
	v_add_f64 v[50:51], v[50:51], v[116:117]
	v_fma_f64 v[114:115], v[143:144], s[16:17], v[25:26]
	v_add_f64 v[48:49], v[48:49], v[112:113]
	v_add_f64 v[112:113], v[116:117], -v[122:123]
	v_fma_f64 v[25:26], v[143:144], s[14:15], v[25:26]
	v_fma_f64 v[116:117], v[152:153], s[14:15], v[68:69]
	v_fma_f64 v[68:69], v[152:153], s[16:17], v[68:69]
	v_add_f64 v[70:71], v[70:71], v[98:99]
	v_add_f64 v[50:51], v[50:51], v[122:123]
	v_add_f64 v[122:123], v[84:85], -v[126:127]
	v_add_f64 v[143:144], v[86:87], -v[124:125]
	v_add_f64 v[152:153], v[92:93], -v[86:87]
	v_add_f64 v[48:49], v[48:49], v[118:119]
	v_add_f64 v[118:119], v[96:97], v[112:113]
	v_fma_f64 v[25:26], v[141:142], s[12:13], v[25:26]
	v_fma_f64 v[96:97], v[141:142], s[4:5], v[114:115]
	;; [unrolled: 1-line block ×4, first 2 shown]
	v_add_f64 v[116:117], v[94:95], v[108:109]
	v_add_f64 v[141:142], v[94:95], -v[108:109]
	v_add_f64 v[145:146], v[92:93], -v[110:111]
	v_add_f64 v[48:49], v[48:49], v[120:121]
	v_fma_f64 v[112:113], v[70:71], s[18:19], v[25:26]
	v_add_f64 v[25:26], v[86:87], -v[92:93]
	v_fma_f64 v[114:115], v[118:119], s[18:19], v[68:69]
	v_add_f64 v[68:69], v[124:125], -v[110:111]
	;; [unrolled: 2-line block ×3, first 2 shown]
	v_fma_f64 v[120:121], v[116:117], -0.5, v[131:132]
	v_fma_f64 v[98:99], v[118:119], s[18:19], v[98:99]
	ds_write_b128 v1, v[48:51]
	ds_write_b128 v1, v[80:83] offset:480
	ds_write_b128 v1, v[96:99] offset:960
	;; [unrolled: 1-line block ×3, first 2 shown]
	v_add_f64 v[25:26], v[25:26], v[68:69]
	v_add_f64 v[68:69], v[84:85], -v[94:95]
	v_fma_f64 v[118:119], v[143:144], s[16:17], v[120:121]
	v_fma_f64 v[120:121], v[143:144], s[14:15], v[120:121]
	buffer_store_dword v1, off, s[24:27], 0 offset:476 ; 4-byte Folded Spill
	v_add_f64 v[70:71], v[68:69], v[70:71]
	v_add_f64 v[68:69], v[92:93], v[110:111]
	v_fma_f64 v[118:119], v[145:146], s[12:13], v[118:119]
	v_fma_f64 v[120:121], v[145:146], s[4:5], v[120:121]
	v_fma_f64 v[68:69], v[68:69], -0.5, v[129:130]
	v_fma_f64 v[118:119], v[70:71], s[18:19], v[118:119]
	v_fma_f64 v[70:71], v[70:71], s[18:19], v[120:121]
	v_add_f64 v[120:121], v[84:85], v[126:127]
	v_fma_f64 v[116:117], v[122:123], s[14:15], v[68:69]
	v_fma_f64 v[68:69], v[122:123], s[16:17], v[68:69]
	v_fma_f64 v[120:121], v[120:121], -0.5, v[131:132]
	v_add_f64 v[131:132], v[131:132], v[84:85]
	v_fma_f64 v[116:117], v[141:142], s[4:5], v[116:117]
	v_fma_f64 v[68:69], v[141:142], s[12:13], v[68:69]
	;; [unrolled: 1-line block ×4, first 2 shown]
	v_add_f64 v[25:26], v[86:87], v[124:125]
	v_fma_f64 v[25:26], v[25:26], -0.5, v[129:130]
	v_add_f64 v[129:130], v[129:130], v[86:87]
	v_add_f64 v[86:87], v[129:130], v[92:93]
	;; [unrolled: 1-line block ×3, first 2 shown]
	v_add_f64 v[94:95], v[94:95], -v[84:85]
	v_add_f64 v[84:85], v[86:87], v[110:111]
	v_add_f64 v[86:87], v[92:93], v[108:109]
	v_add_f64 v[92:93], v[110:111], -v[124:125]
	v_add_f64 v[108:109], v[108:109], -v[126:127]
	v_fma_f64 v[110:111], v[141:142], s[16:17], v[25:26]
	v_fma_f64 v[25:26], v[141:142], s[14:15], v[25:26]
	v_add_f64 v[84:85], v[84:85], v[124:125]
	v_fma_f64 v[124:125], v[145:146], s[14:15], v[120:121]
	v_fma_f64 v[120:121], v[145:146], s[16:17], v[120:121]
	v_add_f64 v[86:87], v[86:87], v[126:127]
	v_add_f64 v[126:127], v[152:153], v[92:93]
	;; [unrolled: 1-line block ×3, first 2 shown]
	v_fma_f64 v[92:93], v[122:123], s[4:5], v[110:111]
	v_fma_f64 v[25:26], v[122:123], s[12:13], v[25:26]
	;; [unrolled: 1-line block ×8, first 2 shown]
	ds_write_b128 v1, v[137:140] offset:1920
	ds_write_b128 v0, v[84:87]
	ds_write_b128 v0, v[116:119] offset:480
	ds_write_b128 v0, v[92:95] offset:960
	;; [unrolled: 1-line block ×3, first 2 shown]
	buffer_store_dword v0, off, s[24:27], 0 offset:496 ; 4-byte Folded Spill
	ds_write_b128 v0, v[68:71] offset:1920
	s_waitcnt lgkmcnt(0)
	s_waitcnt_vscnt null, 0x0
	s_barrier
	buffer_gl0_inv
	ds_read_b128 v[0:3], v148 offset:1440
	ds_read_b128 v[96:99], v148 offset:2880
	ds_read_b128 v[128:131], v148 offset:13440
	ds_read_b128 v[136:139], v148 offset:14880
	ds_read_b128 v[124:127], v148 offset:25440
	ds_read_b128 v[132:135], v148 offset:26880
	ds_read_b128 v[92:95], v148 offset:4320
	ds_read_b128 v[84:87], v148 offset:5760
	ds_read_b128 v[120:123], v148 offset:16320
	ds_read_b128 v[112:115], v148 offset:17760
	ds_read_b128 v[116:119], v148 offset:28320
	ds_read_b128 v[56:59], v148 offset:29760
	ds_read_b128 v[80:83], v148 offset:7200
	ds_read_b128 v[76:79], v148 offset:8640
	ds_read_b128 v[52:55], v148 offset:19200
	ds_read_b128 v[28:31], v148 offset:20640
	ds_read_b128 v[32:35], v148 offset:31200
	ds_read_b128 v[12:15], v148 offset:32640
	ds_read_b128 v[144:147], v148 offset:12000
	ds_read_b128 v[72:75], v148 offset:10080
	ds_read_b128 v[140:143], v148 offset:24000
	ds_read_b128 v[8:11], v148 offset:22080
	ds_read_b128 v[108:111], v148
	ds_read_b128 v[4:7], v148 offset:34080
	s_and_saveexec_b32 s1, s0
	s_cbranch_execz .LBB0_13
; %bb.12:
	ds_read_b128 v[64:67], v148 offset:23520
	ds_read_b128 v[68:71], v148 offset:11520
	ds_read_b128 v[60:63], v148 offset:35520
.LBB0_13:
	s_or_b32 exec_lo, exec_lo, s1
	buffer_load_dword v159, off, s[24:27], 0 ; 4-byte Folded Reload
	s_mov_b32 s13, 0xbfebb67a
	s_waitcnt vmcnt(0)
	v_lshlrev_b32_e32 v16, 5, v159
	v_add_co_u32 v20, s1, s2, v16
	v_add_co_ci_u32_e64 v21, null, s3, 0, s1
	v_add_co_u32 v16, s1, 0x800, v20
	v_add_co_ci_u32_e64 v17, s1, 0, v21, s1
	global_load_dwordx4 v[22:25], v[16:17], off offset:192
	s_waitcnt vmcnt(0) lgkmcnt(5)
	v_mul_f64 v[18:19], v[146:147], v[24:25]
	v_fma_f64 v[152:153], v[144:145], v[22:23], -v[18:19]
	v_mul_f64 v[18:19], v[144:145], v[24:25]
	buffer_store_dword v22, off, s[24:27], 0 offset:548 ; 4-byte Folded Spill
	buffer_store_dword v23, off, s[24:27], 0 offset:552 ; 4-byte Folded Spill
	;; [unrolled: 1-line block ×4, first 2 shown]
	v_fma_f64 v[144:145], v[146:147], v[22:23], v[18:19]
	v_add_co_u32 v18, s1, 0x8c0, v20
	v_add_co_ci_u32_e64 v19, s1, 0, v21, s1
	global_load_dwordx4 v[22:25], v[18:19], off offset:16
	s_waitcnt vmcnt(0) lgkmcnt(3)
	v_mul_f64 v[18:19], v[142:143], v[24:25]
	v_fma_f64 v[146:147], v[140:141], v[22:23], -v[18:19]
	v_mul_f64 v[18:19], v[140:141], v[24:25]
	buffer_store_dword v22, off, s[24:27], 0 offset:532 ; 4-byte Folded Spill
	buffer_store_dword v23, off, s[24:27], 0 offset:536 ; 4-byte Folded Spill
	;; [unrolled: 1-line block ×4, first 2 shown]
	v_fma_f64 v[142:143], v[142:143], v[22:23], v[18:19]
	global_load_dwordx4 v[22:25], v[16:17], off offset:1152
	s_waitcnt vmcnt(0)
	v_mul_f64 v[16:17], v[138:139], v[24:25]
	v_fma_f64 v[140:141], v[136:137], v[22:23], -v[16:17]
	v_mul_f64 v[16:17], v[136:137], v[24:25]
	buffer_store_dword v22, off, s[24:27], 0 offset:516 ; 4-byte Folded Spill
	buffer_store_dword v23, off, s[24:27], 0 offset:520 ; 4-byte Folded Spill
	buffer_store_dword v24, off, s[24:27], 0 offset:524 ; 4-byte Folded Spill
	buffer_store_dword v25, off, s[24:27], 0 offset:528 ; 4-byte Folded Spill
	v_fma_f64 v[136:137], v[138:139], v[22:23], v[16:17]
	v_add_co_u32 v16, s1, 0xc80, v20
	v_add_co_ci_u32_e64 v17, s1, 0, v21, s1
	v_cmp_gt_u16_e64 s1, 60, v159
	global_load_dwordx4 v[18:21], v[16:17], off offset:16
	s_waitcnt vmcnt(0)
	v_mul_f64 v[16:17], v[134:135], v[20:21]
	v_fma_f64 v[138:139], v[132:133], v[18:19], -v[16:17]
	v_mul_f64 v[16:17], v[132:133], v[20:21]
	buffer_store_dword v18, off, s[24:27], 0 offset:500 ; 4-byte Folded Spill
	buffer_store_dword v19, off, s[24:27], 0 offset:504 ; 4-byte Folded Spill
	buffer_store_dword v20, off, s[24:27], 0 offset:508 ; 4-byte Folded Spill
	buffer_store_dword v21, off, s[24:27], 0 offset:512 ; 4-byte Folded Spill
	v_fma_f64 v[132:133], v[134:135], v[18:19], v[16:17]
	v_add_co_u32 v16, s4, 0xffffffc4, v159
	v_add_co_ci_u32_e64 v17, null, 0, -1, s4
	s_mov_b32 s4, 0xe8584caa
	v_cndmask_b32_e64 v24, v16, v161, s1
	s_mov_b32 s5, 0x3febb67a
	v_cndmask_b32_e64 v25, v17, v154, s1
	s_mov_b32 s12, s4
	v_lshlrev_b64 v[16:17], 5, v[24:25]
	v_add_co_u32 v18, s1, s2, v16
	v_add_co_ci_u32_e64 v19, s1, s3, v17, s1
	v_add_co_u32 v16, s1, 0x800, v18
	v_add_co_ci_u32_e64 v17, s1, 0, v19, s1
	global_load_dwordx4 v[20:23], v[16:17], off offset:192
	s_waitcnt vmcnt(0)
	v_mul_f64 v[16:17], v[130:131], v[22:23]
	v_fma_f64 v[40:41], v[128:129], v[20:21], -v[16:17]
	v_mul_f64 v[16:17], v[128:129], v[22:23]
	buffer_store_dword v20, off, s[24:27], 0 offset:644 ; 4-byte Folded Spill
	buffer_store_dword v21, off, s[24:27], 0 offset:648 ; 4-byte Folded Spill
	;; [unrolled: 1-line block ×4, first 2 shown]
	v_fma_f64 v[42:43], v[130:131], v[20:21], v[16:17]
	v_add_co_u32 v16, s1, 0x8c0, v18
	v_add_co_ci_u32_e64 v17, s1, 0, v19, s1
	global_load_dwordx4 v[18:21], v[16:17], off offset:16
	s_waitcnt vmcnt(0)
	v_mul_f64 v[16:17], v[126:127], v[20:21]
	v_fma_f64 v[130:131], v[124:125], v[18:19], -v[16:17]
	v_mul_f64 v[16:17], v[124:125], v[20:21]
	buffer_store_dword v18, off, s[24:27], 0 offset:628 ; 4-byte Folded Spill
	buffer_store_dword v19, off, s[24:27], 0 offset:632 ; 4-byte Folded Spill
	;; [unrolled: 1-line block ×4, first 2 shown]
	v_fma_f64 v[134:135], v[126:127], v[18:19], v[16:17]
	v_lshrrev_b16 v17, 1, v150
	v_mov_b32_e32 v16, 0xda75
	v_mul_u32_u24_sdwa v17, v17, v16 dst_sel:DWORD dst_unused:UNUSED_PAD src0_sel:WORD_0 src1_sel:DWORD
	v_lshrrev_b32_e32 v45, 22, v17
	v_mul_lo_u16 v17, 0x96, v45
	v_sub_nc_u16 v46, v150, v17
	v_lshlrev_b16 v17, 5, v46
	v_and_b32_e32 v17, 0xffff, v17
	v_add_co_u32 v19, s1, s2, v17
	v_add_co_ci_u32_e64 v20, null, s3, 0, s1
	v_add_co_u32 v17, s1, 0x800, v19
	v_add_co_ci_u32_e64 v18, s1, 0, v20, s1
	global_load_dwordx4 v[36:39], v[17:18], off offset:192
	s_waitcnt vmcnt(0)
	v_mul_f64 v[17:18], v[122:123], v[38:39]
	v_fma_f64 v[25:26], v[120:121], v[36:37], -v[17:18]
	v_mul_f64 v[17:18], v[120:121], v[38:39]
	buffer_store_dword v36, off, s[24:27], 0 offset:708 ; 4-byte Folded Spill
	buffer_store_dword v37, off, s[24:27], 0 offset:712 ; 4-byte Folded Spill
	buffer_store_dword v38, off, s[24:27], 0 offset:716 ; 4-byte Folded Spill
	buffer_store_dword v39, off, s[24:27], 0 offset:720 ; 4-byte Folded Spill
	v_fma_f64 v[120:121], v[122:123], v[36:37], v[17:18]
	v_add_co_u32 v17, s1, 0x8c0, v19
	v_add_co_ci_u32_e64 v18, s1, 0, v20, s1
	global_load_dwordx4 v[19:22], v[17:18], off offset:16
	s_waitcnt vmcnt(0)
	v_mul_f64 v[17:18], v[118:119], v[21:22]
	v_fma_f64 v[122:123], v[116:117], v[19:20], -v[17:18]
	v_mul_f64 v[17:18], v[116:117], v[21:22]
	buffer_store_dword v19, off, s[24:27], 0 offset:692 ; 4-byte Folded Spill
	buffer_store_dword v20, off, s[24:27], 0 offset:696 ; 4-byte Folded Spill
	buffer_store_dword v21, off, s[24:27], 0 offset:700 ; 4-byte Folded Spill
	buffer_store_dword v22, off, s[24:27], 0 offset:704 ; 4-byte Folded Spill
	v_fma_f64 v[116:117], v[118:119], v[19:20], v[17:18]
	v_lshrrev_b16 v17, 1, v168
	v_mul_u32_u24_sdwa v17, v17, v16 dst_sel:DWORD dst_unused:UNUSED_PAD src0_sel:WORD_0 src1_sel:DWORD
	v_lshrrev_b32_e32 v17, 22, v17
	v_mul_lo_u16 v17, 0x96, v17
	v_sub_nc_u16 v44, v168, v17
	v_lshlrev_b16 v17, 5, v44
	v_and_b32_e32 v17, 0xffff, v17
	v_add_co_u32 v19, s1, s2, v17
	v_add_co_ci_u32_e64 v20, null, s3, 0, s1
	v_add_co_u32 v17, s1, 0x800, v19
	v_add_co_ci_u32_e64 v18, s1, 0, v20, s1
	global_load_dwordx4 v[47:50], v[17:18], off offset:192
	s_waitcnt vmcnt(0)
	v_mul_f64 v[17:18], v[114:115], v[49:50]
	v_fma_f64 v[36:37], v[112:113], v[47:48], -v[17:18]
	v_mul_f64 v[17:18], v[112:113], v[49:50]
	buffer_store_dword v47, off, s[24:27], 0 offset:792 ; 4-byte Folded Spill
	buffer_store_dword v48, off, s[24:27], 0 offset:796 ; 4-byte Folded Spill
	buffer_store_dword v49, off, s[24:27], 0 offset:800 ; 4-byte Folded Spill
	buffer_store_dword v50, off, s[24:27], 0 offset:804 ; 4-byte Folded Spill
	v_fma_f64 v[38:39], v[114:115], v[47:48], v[17:18]
	v_add_co_u32 v17, s1, 0x8c0, v19
	v_add_co_ci_u32_e64 v18, s1, 0, v20, s1
	global_load_dwordx4 v[19:22], v[17:18], off offset:16
	s_waitcnt vmcnt(0)
	v_mul_f64 v[17:18], v[58:59], v[21:22]
	v_fma_f64 v[112:113], v[56:57], v[19:20], -v[17:18]
	v_mul_f64 v[17:18], v[56:57], v[21:22]
	buffer_store_dword v19, off, s[24:27], 0 offset:776 ; 4-byte Folded Spill
	buffer_store_dword v20, off, s[24:27], 0 offset:780 ; 4-byte Folded Spill
	;; [unrolled: 1-line block ×4, first 2 shown]
	v_fma_f64 v[114:115], v[58:59], v[19:20], v[17:18]
	v_lshrrev_b16 v17, 1, v157
	v_mul_u32_u24_sdwa v17, v17, v16 dst_sel:DWORD dst_unused:UNUSED_PAD src0_sel:WORD_0 src1_sel:DWORD
	v_lshrrev_b32_e32 v17, 22, v17
	v_mul_lo_u16 v17, 0x96, v17
	v_sub_nc_u16 v47, v157, v17
	v_lshlrev_b16 v17, 5, v47
	v_and_b32_e32 v17, 0xffff, v17
	v_add_co_u32 v19, s1, s2, v17
	v_add_co_ci_u32_e64 v20, null, s3, 0, s1
	v_add_co_u32 v17, s1, 0x800, v19
	v_add_co_ci_u32_e64 v18, s1, 0, v20, s1
	global_load_dwordx4 v[48:51], v[17:18], off offset:192
	s_waitcnt vmcnt(0)
	v_mul_f64 v[17:18], v[54:55], v[50:51]
	v_fma_f64 v[118:119], v[52:53], v[48:49], -v[17:18]
	v_mul_f64 v[17:18], v[52:53], v[50:51]
	buffer_store_dword v48, off, s[24:27], 0 offset:1080 ; 4-byte Folded Spill
	buffer_store_dword v49, off, s[24:27], 0 offset:1084 ; 4-byte Folded Spill
	;; [unrolled: 1-line block ×4, first 2 shown]
	v_fma_f64 v[124:125], v[54:55], v[48:49], v[17:18]
	v_add_co_u32 v17, s1, 0x8c0, v19
	v_add_co_ci_u32_e64 v18, s1, 0, v20, s1
	v_add_f64 v[54:55], v[144:145], -v[142:143]
	global_load_dwordx4 v[19:22], v[17:18], off offset:16
	s_waitcnt vmcnt(0)
	v_mul_f64 v[17:18], v[34:35], v[21:22]
	v_fma_f64 v[126:127], v[32:33], v[19:20], -v[17:18]
	v_mul_f64 v[17:18], v[32:33], v[21:22]
	buffer_store_dword v19, off, s[24:27], 0 offset:1064 ; 4-byte Folded Spill
	buffer_store_dword v20, off, s[24:27], 0 offset:1068 ; 4-byte Folded Spill
	;; [unrolled: 1-line block ×4, first 2 shown]
	v_fma_f64 v[32:33], v[34:35], v[19:20], v[17:18]
	v_lshrrev_b16 v17, 1, v156
	v_mul_u32_u24_sdwa v17, v17, v16 dst_sel:DWORD dst_unused:UNUSED_PAD src0_sel:WORD_0 src1_sel:DWORD
	v_lshrrev_b32_e32 v48, 22, v17
	v_mul_lo_u16 v17, 0x96, v48
	v_sub_nc_u16 v49, v156, v17
	v_lshlrev_b16 v17, 5, v49
	v_and_b32_e32 v17, 0xffff, v17
	v_add_co_u32 v19, s1, s2, v17
	v_add_co_ci_u32_e64 v20, null, s3, 0, s1
	v_add_co_u32 v17, s1, 0x800, v19
	v_add_co_ci_u32_e64 v18, s1, 0, v20, s1
	global_load_dwordx4 v[50:53], v[17:18], off offset:192
	s_waitcnt vmcnt(0)
	v_mul_f64 v[17:18], v[30:31], v[52:53]
	v_fma_f64 v[34:35], v[28:29], v[50:51], -v[17:18]
	v_mul_f64 v[17:18], v[28:29], v[52:53]
	buffer_store_dword v50, off, s[24:27], 0 offset:1228 ; 4-byte Folded Spill
	buffer_store_dword v51, off, s[24:27], 0 offset:1232 ; 4-byte Folded Spill
	;; [unrolled: 1-line block ×4, first 2 shown]
	v_fma_f64 v[27:28], v[30:31], v[50:51], v[17:18]
	v_add_co_u32 v17, s1, 0x8c0, v19
	v_add_co_ci_u32_e64 v18, s1, 0, v20, s1
	global_load_dwordx4 v[19:22], v[17:18], off offset:16
	s_waitcnt vmcnt(0)
	v_mul_f64 v[17:18], v[14:15], v[21:22]
	v_fma_f64 v[29:30], v[12:13], v[19:20], -v[17:18]
	v_mul_f64 v[12:13], v[12:13], v[21:22]
	buffer_store_dword v19, off, s[24:27], 0 offset:1208 ; 4-byte Folded Spill
	buffer_store_dword v20, off, s[24:27], 0 offset:1212 ; 4-byte Folded Spill
	;; [unrolled: 1-line block ×4, first 2 shown]
	v_fma_f64 v[128:129], v[14:15], v[19:20], v[12:13]
	v_lshrrev_b16 v12, 1, v155
	v_mul_u32_u24_sdwa v12, v12, v16 dst_sel:DWORD dst_unused:UNUSED_PAD src0_sel:WORD_0 src1_sel:DWORD
	v_lshrrev_b32_e32 v12, 22, v12
	v_mul_lo_u16 v12, 0x96, v12
	v_sub_nc_u16 v31, v155, v12
	v_lshlrev_b16 v12, 5, v31
	v_and_b32_e32 v12, 0xffff, v12
	v_add_co_u32 v14, s1, s2, v12
	v_add_co_ci_u32_e64 v15, null, s3, 0, s1
	v_add_co_u32 v12, s1, 0x800, v14
	v_add_co_ci_u32_e64 v13, s1, 0, v15, s1
	global_load_dwordx4 v[56:59], v[12:13], off offset:192
	s_waitcnt vmcnt(0) lgkmcnt(2)
	v_mul_f64 v[12:13], v[10:11], v[58:59]
	v_fma_f64 v[154:155], v[8:9], v[56:57], -v[12:13]
	v_mul_f64 v[8:9], v[8:9], v[58:59]
	v_fma_f64 v[8:9], v[10:11], v[56:57], v[8:9]
	v_add_co_u32 v10, s1, 0x8c0, v14
	v_add_co_ci_u32_e64 v11, s1, 0, v15, s1
	global_load_dwordx4 v[12:15], v[10:11], off offset:16
	s_waitcnt vmcnt(0) lgkmcnt(0)
	v_mul_f64 v[10:11], v[6:7], v[14:15]
	v_fma_f64 v[156:157], v[4:5], v[12:13], -v[10:11]
	v_mul_f64 v[4:5], v[4:5], v[14:15]
	buffer_store_dword v12, off, s[24:27], 0 offset:1320 ; 4-byte Folded Spill
	buffer_store_dword v13, off, s[24:27], 0 offset:1324 ; 4-byte Folded Spill
	;; [unrolled: 1-line block ×4, first 2 shown]
	v_fma_f64 v[4:5], v[6:7], v[12:13], v[4:5]
	v_lshrrev_b16 v6, 1, v158
	v_mul_u32_u24_sdwa v6, v6, v16 dst_sel:DWORD dst_unused:UNUSED_PAD src0_sel:WORD_0 src1_sel:DWORD
	v_lshrrev_b32_e32 v6, 22, v6
	v_mul_lo_u16 v6, 0x96, v6
	v_sub_nc_u16 v6, v158, v6
	buffer_store_dword v6, off, s[24:27], 0 offset:468 ; 4-byte Folded Spill
	v_lshlrev_b16 v6, 5, v6
	v_and_b32_e32 v6, 0xffff, v6
	v_add_co_u32 v10, s1, s2, v6
	v_add_co_ci_u32_e64 v11, null, s3, 0, s1
	v_add_co_u32 v6, s1, 0x800, v10
	v_add_co_ci_u32_e64 v7, s1, 0, v11, s1
	global_load_dwordx4 v[12:15], v[6:7], off offset:192
	s_waitcnt vmcnt(0)
	v_mul_f64 v[6:7], v[66:67], v[14:15]
	v_fma_f64 v[16:17], v[64:65], v[12:13], -v[6:7]
	v_mul_f64 v[6:7], v[64:65], v[14:15]
	buffer_store_dword v12, off, s[24:27], 0 offset:1360 ; 4-byte Folded Spill
	buffer_store_dword v13, off, s[24:27], 0 offset:1364 ; 4-byte Folded Spill
	;; [unrolled: 1-line block ×4, first 2 shown]
	v_add_f64 v[14:15], v[108:109], v[152:153]
	v_add_f64 v[50:51], v[14:15], v[146:147]
	v_fma_f64 v[18:19], v[66:67], v[12:13], v[6:7]
	v_add_co_u32 v6, s1, 0x8c0, v10
	v_add_co_ci_u32_e64 v7, s1, 0, v11, s1
	v_cmp_lt_u16_e64 s1, 59, v159
	global_load_dwordx4 v[10:13], v[6:7], off offset:16
	s_waitcnt vmcnt(0)
	v_mul_f64 v[6:7], v[62:63], v[12:13]
	v_fma_f64 v[20:21], v[60:61], v[10:11], -v[6:7]
	v_mul_f64 v[6:7], v[60:61], v[12:13]
	buffer_store_dword v10, off, s[24:27], 0 offset:1376 ; 4-byte Folded Spill
	buffer_store_dword v11, off, s[24:27], 0 offset:1380 ; 4-byte Folded Spill
	;; [unrolled: 1-line block ×4, first 2 shown]
	v_add_f64 v[12:13], v[110:111], v[144:145]
	v_add_f64 v[60:61], v[136:137], -v[132:133]
	s_waitcnt_vscnt null, 0x0
	s_barrier
	buffer_gl0_inv
	v_add_f64 v[52:53], v[12:13], v[142:143]
	v_add_f64 v[12:13], v[152:153], -v[146:147]
	ds_write_b128 v148, v[50:53]
	v_add_f64 v[52:53], v[120:121], -v[116:117]
	v_fma_f64 v[22:23], v[62:63], v[10:11], v[6:7]
	v_add_f64 v[6:7], v[152:153], v[146:147]
	v_add_f64 v[10:11], v[144:145], v[142:143]
	v_fma_f64 v[6:7], v[6:7], -0.5, v[108:109]
	v_fma_f64 v[10:11], v[10:11], -0.5, v[110:111]
	v_fma_f64 v[142:143], v[54:55], s[4:5], v[6:7]
	v_fma_f64 v[162:163], v[54:55], s[12:13], v[6:7]
	;; [unrolled: 1-line block ×4, first 2 shown]
	v_add_f64 v[6:7], v[140:141], v[138:139]
	v_add_f64 v[10:11], v[136:137], v[132:133]
	;; [unrolled: 1-line block ×4, first 2 shown]
	ds_write_b128 v148, v[142:145] offset:2400
	ds_write_b128 v148, v[162:165] offset:4800
	v_fma_f64 v[6:7], v[6:7], -0.5, v[96:97]
	v_fma_f64 v[10:11], v[10:11], -0.5, v[98:99]
	v_add_f64 v[14:15], v[12:13], v[132:133]
	v_add_f64 v[12:13], v[54:55], v[138:139]
	v_add_f64 v[54:55], v[140:141], -v[138:139]
	v_fma_f64 v[64:65], v[60:61], s[4:5], v[6:7]
	v_fma_f64 v[60:61], v[60:61], s[12:13], v[6:7]
	v_add_f64 v[6:7], v[40:41], v[130:131]
	v_fma_f64 v[66:67], v[54:55], s[12:13], v[10:11]
	v_fma_f64 v[62:63], v[54:55], s[4:5], v[10:11]
	v_add_f64 v[10:11], v[42:43], v[134:135]
	v_add_f64 v[54:55], v[27:28], -v[128:129]
	v_fma_f64 v[6:7], v[6:7], -0.5, v[0:1]
	v_add_f64 v[0:1], v[0:1], v[40:41]
	v_add_f64 v[40:41], v[40:41], -v[130:131]
	v_fma_f64 v[10:11], v[10:11], -0.5, v[2:3]
	v_add_f64 v[2:3], v[2:3], v[42:43]
	v_add_f64 v[42:43], v[42:43], -v[134:135]
	v_add_f64 v[0:1], v[0:1], v[130:131]
	v_fma_f64 v[110:111], v[40:41], s[12:13], v[10:11]
	v_add_f64 v[2:3], v[2:3], v[134:135]
	v_fma_f64 v[108:109], v[42:43], s[4:5], v[6:7]
	v_fma_f64 v[96:97], v[42:43], s[12:13], v[6:7]
	v_cndmask_b32_e64 v6, 0, 0x1c2, s1
	v_fma_f64 v[98:99], v[40:41], s[4:5], v[10:11]
	v_add_f64 v[10:11], v[92:93], v[25:26]
	v_add_lshl_u32 v130, v24, v6, 4
	v_add_f64 v[6:7], v[94:95], v[120:121]
	buffer_store_dword v130, off, s[24:27], 0 offset:756 ; 4-byte Folded Spill
	ds_write_b128 v130, v[0:3]
	v_add_f64 v[0:1], v[25:26], v[122:123]
	v_add_f64 v[2:3], v[120:121], v[116:117]
	ds_write_b128 v130, v[108:111] offset:2400
	ds_write_b128 v130, v[96:99] offset:4800
	;; [unrolled: 1-line block ×5, first 2 shown]
	v_add_f64 v[40:41], v[10:11], v[122:123]
	v_add_f64 v[10:11], v[84:85], v[36:37]
	v_mad_u16 v13, 0x1c2, v45, v46
	v_mov_b32_e32 v12, 4
	v_add_f64 v[42:43], v[6:7], v[116:117]
	v_add_f64 v[6:7], v[25:26], -v[122:123]
	v_add_f64 v[24:25], v[38:39], -v[114:115]
	v_lshlrev_b32_sdwa v13, v12, v13 dst_sel:DWORD dst_unused:UNUSED_PAD src0_sel:DWORD src1_sel:WORD_0
	v_fma_f64 v[0:1], v[0:1], -0.5, v[92:93]
	v_fma_f64 v[2:3], v[2:3], -0.5, v[94:95]
	v_fma_f64 v[50:51], v[52:53], s[4:5], v[0:1]
	v_fma_f64 v[92:93], v[52:53], s[12:13], v[0:1]
	;; [unrolled: 1-line block ×4, first 2 shown]
	v_add_f64 v[2:3], v[38:39], v[114:115]
	v_add_f64 v[6:7], v[86:87], v[38:39]
	;; [unrolled: 1-line block ×3, first 2 shown]
	ds_write_b128 v13, v[40:43]
	ds_write_b128 v13, v[50:53] offset:2400
	buffer_store_dword v13, off, s[24:27], 0 offset:1248 ; 4-byte Folded Spill
	ds_write_b128 v13, v[92:95] offset:4800
	v_fma_f64 v[2:3], v[2:3], -0.5, v[86:87]
	v_add_f64 v[86:87], v[6:7], v[114:115]
	v_add_f64 v[6:7], v[36:37], -v[112:113]
	v_fma_f64 v[0:1], v[0:1], -0.5, v[84:85]
	v_add_f64 v[84:85], v[10:11], v[112:113]
	v_add_f64 v[10:11], v[80:81], v[118:119]
	v_lshlrev_b32_sdwa v13, v12, v44 dst_sel:DWORD dst_unused:UNUSED_PAD src0_sel:DWORD src1_sel:WORD_0
	v_fma_f64 v[38:39], v[6:7], s[12:13], v[2:3]
	v_fma_f64 v[114:115], v[6:7], s[4:5], v[2:3]
	v_add_f64 v[2:3], v[124:125], v[32:33]
	v_add_f64 v[6:7], v[82:83], v[124:125]
	v_fma_f64 v[36:37], v[24:25], s[4:5], v[0:1]
	v_fma_f64 v[112:113], v[24:25], s[12:13], v[0:1]
	v_add_f64 v[0:1], v[118:119], v[126:127]
	v_add_f64 v[24:25], v[124:125], -v[32:33]
	ds_write_b128 v13, v[84:87] offset:14400
	ds_write_b128 v13, v[36:39] offset:16800
	v_fma_f64 v[2:3], v[2:3], -0.5, v[82:83]
	v_add_f64 v[82:83], v[6:7], v[32:33]
	v_add_f64 v[6:7], v[118:119], -v[126:127]
	v_fma_f64 v[0:1], v[0:1], -0.5, v[80:81]
	v_add_f64 v[80:81], v[10:11], v[126:127]
	v_add_f64 v[10:11], v[76:77], v[34:35]
	buffer_store_dword v13, off, s[24:27], 0 offset:1244 ; 4-byte Folded Spill
	ds_write_b128 v13, v[112:115] offset:19200
	v_lshlrev_b32_sdwa v13, v12, v47 dst_sel:DWORD dst_unused:UNUSED_PAD src0_sel:DWORD src1_sel:WORD_0
	v_fma_f64 v[118:119], v[6:7], s[12:13], v[2:3]
	v_fma_f64 v[122:123], v[6:7], s[4:5], v[2:3]
	v_add_f64 v[2:3], v[27:28], v[128:129]
	v_add_f64 v[6:7], v[78:79], v[27:28]
	v_fma_f64 v[116:117], v[24:25], s[4:5], v[0:1]
	v_fma_f64 v[120:121], v[24:25], s[12:13], v[0:1]
	v_add_f64 v[0:1], v[34:35], v[29:30]
	v_add_f64 v[24:25], v[10:11], v[29:30]
	ds_write_b128 v13, v[80:83] offset:21600
	ds_write_b128 v13, v[116:119] offset:24000
	v_fma_f64 v[2:3], v[2:3], -0.5, v[78:79]
	v_add_f64 v[26:27], v[6:7], v[128:129]
	v_add_f64 v[6:7], v[34:35], -v[29:30]
	v_fma_f64 v[0:1], v[0:1], -0.5, v[76:77]
	v_add_f64 v[28:29], v[72:73], v[154:155]
	buffer_store_dword v13, off, s[24:27], 0 offset:1224 ; 4-byte Folded Spill
	ds_write_b128 v13, v[120:123] offset:26400
	v_mad_u16 v13, 0x1c2, v48, v49
	v_lshlrev_b32_sdwa v13, v12, v13 dst_sel:DWORD dst_unused:UNUSED_PAD src0_sel:DWORD src1_sel:WORD_0
	v_fma_f64 v[34:35], v[6:7], s[12:13], v[2:3]
	v_fma_f64 v[78:79], v[6:7], s[4:5], v[2:3]
	v_add_f64 v[2:3], v[8:9], v[4:5]
	v_fma_f64 v[32:33], v[54:55], s[4:5], v[0:1]
	v_fma_f64 v[76:77], v[54:55], s[12:13], v[0:1]
	v_add_f64 v[0:1], v[154:155], v[156:157]
	v_add_f64 v[6:7], v[74:75], v[8:9]
	v_add_f64 v[54:55], v[8:9], -v[4:5]
	v_add_f64 v[8:9], v[28:29], v[156:157]
	v_add_f64 v[28:29], v[154:155], -v[156:157]
	ds_write_b128 v13, v[24:27]
	ds_write_b128 v13, v[32:35] offset:2400
	v_fma_f64 v[2:3], v[2:3], -0.5, v[74:75]
	buffer_store_dword v13, off, s[24:27], 0 offset:1316 ; 4-byte Folded Spill
	v_fma_f64 v[0:1], v[0:1], -0.5, v[72:73]
	v_add_f64 v[10:11], v[6:7], v[4:5]
	v_add_f64 v[72:73], v[18:19], -v[22:23]
	ds_write_b128 v13, v[76:79] offset:4800
	v_lshlrev_b32_sdwa v13, v12, v31 dst_sel:DWORD dst_unused:UNUSED_PAD src0_sel:DWORD src1_sel:WORD_0
	v_fma_f64 v[6:7], v[28:29], s[12:13], v[2:3]
	v_fma_f64 v[2:3], v[28:29], s[4:5], v[2:3]
	v_add_f64 v[28:29], v[16:17], v[20:21]
	v_fma_f64 v[4:5], v[54:55], s[4:5], v[0:1]
	v_fma_f64 v[0:1], v[54:55], s[12:13], v[0:1]
	v_add_f64 v[54:55], v[18:19], v[22:23]
	ds_write_b128 v13, v[8:11] offset:28800
	ds_write_b128 v13, v[4:7] offset:31200
	v_fma_f64 v[28:29], v[28:29], -0.5, v[68:69]
	buffer_store_dword v13, off, s[24:27], 0 offset:1336 ; 4-byte Folded Spill
	v_fma_f64 v[54:55], v[54:55], -0.5, v[70:71]
	ds_write_b128 v13, v[0:3] offset:33600
	v_fma_f64 v[156:157], v[72:73], s[4:5], v[28:29]
	v_fma_f64 v[152:153], v[72:73], s[12:13], v[28:29]
	v_add_f64 v[28:29], v[16:17], -v[20:21]
	v_fma_f64 v[158:159], v[28:29], s[12:13], v[54:55]
	v_fma_f64 v[154:155], v[28:29], s[4:5], v[54:55]
	s_and_saveexec_b32 s1, s0
	s_cbranch_execz .LBB0_15
; %bb.14:
	v_add_f64 v[0:1], v[70:71], v[18:19]
	v_add_f64 v[4:5], v[68:69], v[16:17]
	;; [unrolled: 1-line block ×4, first 2 shown]
	buffer_load_dword v4, off, s[24:27], 0 offset:468 ; 4-byte Folded Reload
	s_waitcnt vmcnt(0)
	v_lshlrev_b32_sdwa v4, v12, v4 dst_sel:DWORD dst_unused:UNUSED_PAD src0_sel:DWORD src1_sel:WORD_0
	ds_write_b128 v4, v[156:159] offset:31200
	ds_write_b128 v4, v[0:3] offset:28800
	;; [unrolled: 1-line block ×3, first 2 shown]
.LBB0_15:
	s_or_b32 exec_lo, exec_lo, s1
	buffer_load_dword v0, off, s[24:27], 0  ; 4-byte Folded Reload
	s_waitcnt vmcnt(0) lgkmcnt(0)
	s_waitcnt_vscnt null, 0x0
	s_barrier
	buffer_gl0_inv
	v_lshlrev_b32_e32 v4, 6, v161
	s_mov_b32 s16, s14
	s_mov_b32 s5, 0xbfe2cf23
	;; [unrolled: 1-line block ×4, first 2 shown]
	v_lshlrev_b32_e32 v0, 6, v0
	v_add_co_u32 v2, s1, s2, v0
	v_add_co_ci_u32_e64 v3, null, s3, 0, s1
	v_add_co_u32 v0, s1, 0x1800, v2
	v_add_co_ci_u32_e64 v1, s1, 0, v3, s1
	global_load_dwordx4 v[80:83], v[0:1], off offset:896
	v_add_co_u32 v0, s1, 0x1b80, v2
	v_add_co_ci_u32_e64 v1, s1, 0, v3, s1
	v_add_co_u32 v4, s1, s2, v4
	v_add_co_ci_u32_e64 v5, null, s3, 0, s1
	s_clause 0x1
	global_load_dwordx4 v[72:75], v[0:1], off offset:16
	global_load_dwordx4 v[92:95], v[0:1], off offset:32
	v_add_co_u32 v2, s1, 0x1800, v4
	v_add_co_ci_u32_e64 v3, s1, 0, v5, s1
	global_load_dwordx4 v[68:71], v[0:1], off offset:48
	v_add_co_u32 v0, s1, 0x1b80, v4
	v_add_co_ci_u32_e64 v1, s1, 0, v5, s1
	s_clause 0x2
	global_load_dwordx4 v[64:67], v[2:3], off offset:896
	global_load_dwordx4 v[140:143], v[0:1], off offset:16
	;; [unrolled: 1-line block ×3, first 2 shown]
	v_lshlrev_b32_e32 v2, 6, v160
	v_add_co_u32 v4, s1, s2, v2
	v_add_co_ci_u32_e64 v5, null, s3, 0, s1
	v_add_co_u32 v2, s1, 0x1800, v4
	v_add_co_ci_u32_e64 v3, s1, 0, v5, s1
	s_clause 0x1
	global_load_dwordx4 v[112:115], v[0:1], off offset:48
	global_load_dwordx4 v[108:111], v[2:3], off offset:896
	v_add_co_u32 v0, s1, 0x1b80, v4
	v_add_co_ci_u32_e64 v1, s1, 0, v5, s1
	s_clause 0x2
	global_load_dwordx4 v[84:87], v[0:1], off offset:16
	global_load_dwordx4 v[96:99], v[0:1], off offset:32
	;; [unrolled: 1-line block ×3, first 2 shown]
	v_lshlrev_b64 v[0:1], 6, v[150:151]
	v_add_co_u32 v138, s1, s2, v0
	v_add_co_ci_u32_e64 v139, s1, s3, v1, s1
	v_add_co_u32 v0, s1, 0x1800, v138
	v_add_co_ci_u32_e64 v1, s1, 0, v139, s1
	global_load_dwordx4 v[120:123], v[0:1], off offset:896
	ds_read_b128 v[0:3], v148 offset:7200
	ds_read_b128 v[4:7], v148 offset:14400
	ds_read_b128 v[8:11], v148 offset:21600
	ds_read_b128 v[12:15], v148 offset:28800
	ds_read_b128 v[16:19], v148 offset:8640
	ds_read_b128 v[20:23], v148 offset:15840
	ds_read_b128 v[52:55], v148 offset:23040
	ds_read_b128 v[60:63], v148 offset:30240
	ds_read_b128 v[124:127], v148 offset:10080
	ds_read_b128 v[128:131], v148 offset:17280
	s_waitcnt vmcnt(12) lgkmcnt(9)
	v_mul_f64 v[24:25], v[2:3], v[82:83]
	v_mul_f64 v[26:27], v[0:1], v[82:83]
	s_waitcnt vmcnt(11) lgkmcnt(8)
	v_mul_f64 v[28:29], v[6:7], v[74:75]
	v_mul_f64 v[30:31], v[4:5], v[74:75]
	;; [unrolled: 3-line block ×4, first 2 shown]
	s_waitcnt vmcnt(8) lgkmcnt(5)
	v_mul_f64 v[132:133], v[18:19], v[66:67]
	v_fma_f64 v[40:41], v[0:1], v[80:81], -v[24:25]
	v_fma_f64 v[0:1], v[2:3], v[80:81], v[26:27]
	s_waitcnt vmcnt(7) lgkmcnt(4)
	v_mul_f64 v[26:27], v[22:23], v[142:143]
	v_mul_f64 v[136:137], v[20:21], v[142:143]
	;; [unrolled: 1-line block ×3, first 2 shown]
	v_fma_f64 v[46:47], v[4:5], v[72:73], -v[28:29]
	v_fma_f64 v[44:45], v[6:7], v[72:73], v[30:31]
	s_waitcnt vmcnt(6) lgkmcnt(3)
	v_mul_f64 v[4:5], v[54:55], v[118:119]
	v_mul_f64 v[6:7], v[52:53], v[118:119]
	v_fma_f64 v[42:43], v[8:9], v[92:93], -v[32:33]
	v_fma_f64 v[2:3], v[10:11], v[92:93], v[34:35]
	v_fma_f64 v[50:51], v[12:13], v[68:69], -v[36:37]
	v_fma_f64 v[48:49], v[14:15], v[68:69], v[38:39]
	s_waitcnt vmcnt(5) lgkmcnt(2)
	v_mul_f64 v[8:9], v[62:63], v[114:115]
	v_mul_f64 v[10:11], v[60:61], v[114:115]
	v_fma_f64 v[28:29], v[16:17], v[64:65], -v[132:133]
	s_waitcnt vmcnt(4) lgkmcnt(1)
	v_mul_f64 v[16:17], v[126:127], v[110:111]
	v_fma_f64 v[36:37], v[20:21], v[140:141], -v[26:27]
	buffer_store_dword v140, off, s[24:27], 0 offset:1340 ; 4-byte Folded Spill
	buffer_store_dword v141, off, s[24:27], 0 offset:1344 ; 4-byte Folded Spill
	;; [unrolled: 1-line block ×4, first 2 shown]
	ds_read_b128 v[12:15], v148 offset:24480
	v_fma_f64 v[24:25], v[18:19], v[64:65], v[134:135]
	v_mul_f64 v[18:19], v[124:125], v[110:111]
	v_add_f64 v[198:199], v[46:47], -v[40:41]
	v_fma_f64 v[30:31], v[52:53], v[116:117], -v[4:5]
	v_fma_f64 v[26:27], v[54:55], v[116:117], v[6:7]
	ds_read_b128 v[52:55], v148 offset:31680
	v_add_f64 v[180:181], v[46:47], v[42:43]
	v_add_f64 v[194:195], v[40:41], -v[50:51]
	v_add_f64 v[190:191], v[0:1], -v[48:49]
	v_fma_f64 v[38:39], v[60:61], v[112:113], -v[8:9]
	v_fma_f64 v[34:35], v[62:63], v[112:113], v[10:11]
	ds_read_b128 v[60:63], v148 offset:11520
	s_waitcnt vmcnt(3) lgkmcnt(3)
	v_mul_f64 v[8:9], v[130:131], v[86:87]
	v_mul_f64 v[10:11], v[128:129], v[86:87]
	v_fma_f64 v[6:7], v[124:125], v[108:109], -v[16:17]
	v_add_f64 v[192:193], v[44:45], -v[2:3]
	s_waitcnt vmcnt(2) lgkmcnt(2)
	v_mul_f64 v[20:21], v[12:13], v[98:99]
	v_mul_f64 v[16:17], v[14:15], v[98:99]
	v_add_f64 v[196:197], v[46:47], -v[42:43]
	v_fma_f64 v[4:5], v[126:127], v[108:109], v[18:19]
	s_waitcnt vmcnt(1) lgkmcnt(1)
	v_mul_f64 v[124:125], v[52:53], v[78:79]
	v_add_f64 v[202:203], v[36:37], -v[30:31]
	v_add_f64 v[200:201], v[28:29], -v[38:39]
	v_fma_f64 v[18:19], v[128:129], v[84:85], -v[8:9]
	v_fma_f64 v[10:11], v[130:131], v[84:85], v[10:11]
	v_fma_f64 v[8:9], v[14:15], v[96:97], v[20:21]
	v_fma_f64 v[16:17], v[12:13], v[96:97], -v[16:17]
	s_waitcnt vmcnt(0) lgkmcnt(0)
	v_mul_f64 v[12:13], v[62:63], v[122:123]
	v_fma_f64 v[20:21], v[54:55], v[76:77], v[124:125]
	v_add_co_u32 v124, s1, 0x1b80, v138
	v_add_co_ci_u32_e64 v125, s1, 0, v139, s1
	s_clause 0x2
	global_load_dwordx4 v[128:131], v[124:125], off offset:16
	global_load_dwordx4 v[132:135], v[124:125], off offset:32
	;; [unrolled: 1-line block ×3, first 2 shown]
	v_fma_f64 v[14:15], v[60:61], v[120:121], -v[12:13]
	v_fma_f64 v[32:33], v[22:23], v[140:141], v[136:137]
	v_mul_f64 v[22:23], v[54:55], v[78:79]
	v_fma_f64 v[22:23], v[52:53], v[76:77], -v[22:23]
	v_mul_f64 v[52:53], v[60:61], v[122:123]
	v_fma_f64 v[12:13], v[62:63], v[120:121], v[52:53]
	ds_read_b128 v[52:55], v148 offset:18720
	s_waitcnt vmcnt(2) lgkmcnt(0)
	v_mul_f64 v[60:61], v[54:55], v[130:131]
	v_fma_f64 v[160:161], v[52:53], v[128:129], -v[60:61]
	v_mul_f64 v[52:53], v[52:53], v[130:131]
	v_fma_f64 v[162:163], v[54:55], v[128:129], v[52:53]
	ds_read_b128 v[52:55], v148 offset:25920
	s_waitcnt vmcnt(1) lgkmcnt(0)
	;; [unrolled: 6-line block ×3, first 2 shown]
	v_mul_f64 v[60:61], v[54:55], v[126:127]
	v_fma_f64 v[228:229], v[52:53], v[124:125], -v[60:61]
	v_mul_f64 v[52:53], v[52:53], v[126:127]
	v_fma_f64 v[232:233], v[54:55], v[124:125], v[52:53]
	v_lshlrev_b64 v[52:53], 6, v[168:169]
	v_add_co_u32 v62, s1, s2, v52
	v_add_co_ci_u32_e64 v63, s1, s3, v53, s1
	s_mov_b32 s2, 0x4755a5e
	v_add_co_u32 v52, s1, 0x1800, v62
	v_add_co_ci_u32_e64 v53, s1, 0, v63, s1
	v_add_co_u32 v140, s1, 0x1b80, v62
	v_add_co_ci_u32_e64 v141, s1, 0, v63, s1
	global_load_dwordx4 v[136:139], v[52:53], off offset:896
	s_mov_b32 s3, 0x3fe2cf23
	s_mov_b32 s4, s2
	global_load_dwordx4 v[144:147], v[140:141], off offset:16
	ds_read_b128 v[52:55], v148 offset:12960
	s_waitcnt vmcnt(1) lgkmcnt(0)
	v_mul_f64 v[60:61], v[54:55], v[138:139]
	v_fma_f64 v[168:169], v[52:53], v[136:137], -v[60:61]
	v_mul_f64 v[52:53], v[52:53], v[138:139]
	v_fma_f64 v[172:173], v[54:55], v[136:137], v[52:53]
	ds_read_b128 v[52:55], v148 offset:20160
	s_waitcnt vmcnt(0) lgkmcnt(0)
	v_mul_f64 v[60:61], v[54:55], v[146:147]
	v_fma_f64 v[170:171], v[52:53], v[144:145], -v[60:61]
	global_load_dwordx4 v[60:63], v[140:141], off offset:32
	v_mul_f64 v[52:53], v[52:53], v[146:147]
	v_fma_f64 v[174:175], v[54:55], v[144:145], v[52:53]
	ds_read_b128 v[52:55], v148 offset:27360
	s_waitcnt vmcnt(0) lgkmcnt(0)
	v_mul_f64 v[142:143], v[54:55], v[62:63]
	v_fma_f64 v[178:179], v[52:53], v[60:61], -v[142:143]
	global_load_dwordx4 v[140:143], v[140:141], off offset:48
	v_mul_f64 v[52:53], v[52:53], v[62:63]
	v_fma_f64 v[176:177], v[54:55], v[60:61], v[52:53]
	ds_read_b128 v[52:55], v148 offset:34560
	s_waitcnt vmcnt(0) lgkmcnt(0)
	v_mul_f64 v[150:151], v[54:55], v[142:143]
	v_fma_f64 v[238:239], v[52:53], v[140:141], -v[150:151]
	v_mul_f64 v[52:53], v[52:53], v[142:143]
	v_fma_f64 v[236:237], v[54:55], v[140:141], v[52:53]
	v_add_f64 v[52:53], v[40:41], -v[46:47]
	v_add_f64 v[54:55], v[50:51], -v[42:43]
	v_add_f64 v[150:151], v[52:53], v[54:55]
	v_add_f64 v[52:53], v[0:1], -v[44:45]
	v_add_f64 v[54:55], v[48:49], -v[2:3]
	v_add_f64 v[186:187], v[52:53], v[54:55]
	ds_read_b128 v[52:55], v148
	s_waitcnt lgkmcnt(0)
	v_fma_f64 v[184:185], v[180:181], -0.5, v[52:53]
	v_add_f64 v[180:181], v[44:45], v[2:3]
	v_fma_f64 v[188:189], v[180:181], -0.5, v[54:55]
	v_fma_f64 v[180:181], v[190:191], s[14:15], v[184:185]
	v_fma_f64 v[184:185], v[190:191], s[16:17], v[184:185]
	;; [unrolled: 1-line block ×10, first 2 shown]
	v_add_f64 v[150:151], v[40:41], v[50:51]
	v_fma_f64 v[182:183], v[186:187], s[12:13], v[182:183]
	v_fma_f64 v[186:187], v[186:187], s[12:13], v[188:189]
	v_add_f64 v[188:189], v[0:1], v[48:49]
	v_fma_f64 v[150:151], v[150:151], -0.5, v[52:53]
	v_add_f64 v[52:53], v[52:53], v[40:41]
	v_fma_f64 v[188:189], v[188:189], -0.5, v[54:55]
	v_add_f64 v[54:55], v[54:55], v[0:1]
	v_add_f64 v[0:1], v[44:45], -v[0:1]
	v_add_f64 v[40:41], v[52:53], v[46:47]
	v_fma_f64 v[52:53], v[196:197], s[16:17], v[188:189]
	v_add_f64 v[46:47], v[54:55], v[44:45]
	v_add_f64 v[54:55], v[32:33], -v[26:27]
	v_add_f64 v[40:41], v[40:41], v[42:43]
	v_add_f64 v[44:45], v[46:47], v[2:3]
	v_add_f64 v[46:47], v[42:43], -v[50:51]
	v_add_f64 v[40:41], v[40:41], v[50:51]
	v_add_f64 v[2:3], v[2:3], -v[48:49]
	v_fma_f64 v[50:51], v[196:197], s[14:15], v[188:189]
	v_add_f64 v[42:43], v[44:45], v[48:49]
	v_fma_f64 v[44:45], v[192:193], s[16:17], v[150:151]
	v_fma_f64 v[48:49], v[192:193], s[14:15], v[150:151]
	v_add_f64 v[46:47], v[198:199], v[46:47]
	v_add_f64 v[0:1], v[0:1], v[2:3]
	v_fma_f64 v[2:3], v[190:191], s[2:3], v[44:45]
	v_fma_f64 v[44:45], v[190:191], s[4:5], v[48:49]
	v_fma_f64 v[48:49], v[194:195], s[4:5], v[50:51]
	v_fma_f64 v[50:51], v[194:195], s[2:3], v[52:53]
	v_add_f64 v[52:53], v[24:25], -v[34:35]
	v_fma_f64 v[188:189], v[46:47], s[12:13], v[2:3]
	v_add_f64 v[2:3], v[38:39], -v[30:31]
	v_fma_f64 v[190:191], v[0:1], s[12:13], v[48:49]
	v_fma_f64 v[194:195], v[0:1], s[12:13], v[50:51]
	v_add_f64 v[0:1], v[28:29], -v[36:37]
	v_fma_f64 v[192:193], v[46:47], s[12:13], v[44:45]
	v_add_f64 v[44:45], v[34:35], -v[26:27]
	v_add_f64 v[48:49], v[36:37], v[30:31]
	v_add_f64 v[50:51], v[32:33], v[26:27]
	;; [unrolled: 1-line block ×3, first 2 shown]
	v_add_f64 v[2:3], v[24:25], -v[32:33]
	v_add_f64 v[2:3], v[2:3], v[44:45]
	ds_read_b128 v[44:47], v148 offset:1440
	s_waitcnt lgkmcnt(0)
	v_fma_f64 v[48:49], v[48:49], -0.5, v[44:45]
	v_fma_f64 v[50:51], v[50:51], -0.5, v[46:47]
	v_fma_f64 v[150:151], v[52:53], s[14:15], v[48:49]
	v_fma_f64 v[196:197], v[200:201], s[16:17], v[50:51]
	;; [unrolled: 1-line block ×12, first 2 shown]
	v_add_f64 v[48:49], v[28:29], v[38:39]
	v_add_f64 v[50:51], v[24:25], v[34:35]
	v_add_f64 v[150:151], v[36:37], -v[28:29]
	v_fma_f64 v[48:49], v[48:49], -0.5, v[44:45]
	v_fma_f64 v[50:51], v[50:51], -0.5, v[46:47]
	v_add_f64 v[44:45], v[44:45], v[28:29]
	v_add_f64 v[46:47], v[46:47], v[24:25]
	v_add_f64 v[24:25], v[32:33], -v[24:25]
	v_add_f64 v[28:29], v[44:45], v[36:37]
	v_add_f64 v[36:37], v[46:47], v[32:33]
	v_fma_f64 v[44:45], v[202:203], s[16:17], v[50:51]
	v_add_f64 v[46:47], v[10:11], -v[8:9]
	v_add_f64 v[28:29], v[28:29], v[30:31]
	v_add_f64 v[32:33], v[36:37], v[26:27]
	v_add_f64 v[36:37], v[30:31], -v[38:39]
	v_add_f64 v[26:27], v[26:27], -v[34:35]
	v_add_f64 v[28:29], v[28:29], v[38:39]
	v_add_f64 v[30:31], v[32:33], v[34:35]
	v_fma_f64 v[32:33], v[54:55], s[16:17], v[48:49]
	v_fma_f64 v[34:35], v[54:55], s[14:15], v[48:49]
	;; [unrolled: 1-line block ×3, first 2 shown]
	v_add_f64 v[36:37], v[150:151], v[36:37]
	v_add_f64 v[24:25], v[24:25], v[26:27]
	v_add_f64 v[50:51], v[6:7], -v[22:23]
	v_fma_f64 v[26:27], v[52:53], s[2:3], v[32:33]
	v_fma_f64 v[32:33], v[52:53], s[4:5], v[34:35]
	;; [unrolled: 1-line block ×4, first 2 shown]
	v_add_f64 v[44:45], v[4:5], -v[20:21]
	v_add_f64 v[52:53], v[18:19], -v[16:17]
	v_fma_f64 v[204:205], v[36:37], s[12:13], v[26:27]
	v_add_f64 v[26:27], v[22:23], -v[16:17]
	v_fma_f64 v[206:207], v[24:25], s[12:13], v[34:35]
	v_fma_f64 v[202:203], v[24:25], s[12:13], v[38:39]
	v_add_f64 v[24:25], v[6:7], -v[18:19]
	v_fma_f64 v[200:201], v[36:37], s[12:13], v[32:33]
	v_add_f64 v[36:37], v[18:19], v[16:17]
	v_add_f64 v[38:39], v[10:11], v[8:9]
	;; [unrolled: 1-line block ×3, first 2 shown]
	v_add_f64 v[24:25], v[4:5], -v[10:11]
	v_add_f64 v[26:27], v[20:21], -v[8:9]
	v_add_f64 v[34:35], v[24:25], v[26:27]
	ds_read_b128 v[24:27], v148 offset:2880
	ds_write_b128 v148, v[40:43]
	ds_write_b128 v148, v[28:31] offset:1440
	v_add_f64 v[28:29], v[14:15], -v[228:229]
	v_add_f64 v[30:31], v[160:161], -v[166:167]
	s_waitcnt lgkmcnt(2)
	v_fma_f64 v[36:37], v[36:37], -0.5, v[24:25]
	v_fma_f64 v[38:39], v[38:39], -0.5, v[26:27]
	v_fma_f64 v[48:49], v[44:45], s[14:15], v[36:37]
	v_fma_f64 v[54:55], v[50:51], s[16:17], v[38:39]
	;; [unrolled: 1-line block ×12, first 2 shown]
	v_add_f64 v[32:33], v[6:7], v[22:23]
	v_add_f64 v[34:35], v[4:5], v[20:21]
	v_add_f64 v[36:37], v[170:171], -v[178:179]
	v_fma_f64 v[32:33], v[32:33], -0.5, v[24:25]
	v_fma_f64 v[34:35], v[34:35], -0.5, v[26:27]
	v_add_f64 v[24:25], v[24:25], v[6:7]
	v_add_f64 v[26:27], v[26:27], v[4:5]
	v_add_f64 v[6:7], v[18:19], -v[6:7]
	v_add_f64 v[4:5], v[10:11], -v[4:5]
	v_add_f64 v[18:19], v[24:25], v[18:19]
	v_add_f64 v[24:25], v[26:27], v[10:11]
	v_add_f64 v[26:27], v[162:163], -v[164:165]
	v_add_f64 v[10:11], v[18:19], v[16:17]
	v_add_f64 v[18:19], v[24:25], v[8:9]
	v_add_f64 v[16:17], v[16:17], -v[22:23]
	v_add_f64 v[8:9], v[8:9], -v[20:21]
	;; [unrolled: 1-line block ×3, first 2 shown]
	v_add_f64 v[220:221], v[10:11], v[22:23]
	v_add_f64 v[222:223], v[18:19], v[20:21]
	v_fma_f64 v[10:11], v[46:47], s[16:17], v[32:33]
	v_fma_f64 v[18:19], v[46:47], s[14:15], v[32:33]
	v_fma_f64 v[20:21], v[52:53], s[14:15], v[34:35]
	v_fma_f64 v[22:23], v[52:53], s[16:17], v[34:35]
	v_add_f64 v[6:7], v[6:7], v[16:17]
	v_add_f64 v[4:5], v[4:5], v[8:9]
	v_add_f64 v[32:33], v[166:167], -v[228:229]
	v_add_f64 v[34:35], v[168:169], -v[238:239]
	v_fma_f64 v[8:9], v[44:45], s[2:3], v[10:11]
	v_fma_f64 v[10:11], v[44:45], s[4:5], v[18:19]
	v_fma_f64 v[16:17], v[50:51], s[4:5], v[20:21]
	v_fma_f64 v[18:19], v[50:51], s[2:3], v[22:23]
	v_fma_f64 v[224:225], v[6:7], s[12:13], v[8:9]
	v_fma_f64 v[216:217], v[6:7], s[12:13], v[10:11]
	v_fma_f64 v[226:227], v[4:5], s[12:13], v[16:17]
	v_fma_f64 v[218:219], v[4:5], s[12:13], v[18:19]
	v_add_f64 v[4:5], v[14:15], -v[160:161]
	v_add_f64 v[6:7], v[228:229], -v[166:167]
	;; [unrolled: 1-line block ×3, first 2 shown]
	ds_read_b128 v[16:19], v148 offset:4320
	v_add_f64 v[4:5], v[4:5], v[6:7]
	v_add_f64 v[6:7], v[12:13], -v[162:163]
	v_add_f64 v[6:7], v[6:7], v[8:9]
	v_add_f64 v[8:9], v[160:161], v[166:167]
	s_waitcnt lgkmcnt(0)
	v_fma_f64 v[20:21], v[8:9], -0.5, v[16:17]
	v_add_f64 v[8:9], v[162:163], v[164:165]
	v_fma_f64 v[22:23], v[8:9], -0.5, v[18:19]
	v_fma_f64 v[8:9], v[24:25], s[14:15], v[20:21]
	v_fma_f64 v[20:21], v[24:25], s[16:17], v[20:21]
	;; [unrolled: 1-line block ×10, first 2 shown]
	v_add_f64 v[20:21], v[14:15], v[228:229]
	v_fma_f64 v[10:11], v[6:7], s[12:13], v[10:11]
	v_fma_f64 v[6:7], v[6:7], s[12:13], v[22:23]
	v_add_f64 v[22:23], v[12:13], v[232:233]
	v_fma_f64 v[20:21], v[20:21], -0.5, v[16:17]
	v_add_f64 v[16:17], v[16:17], v[14:15]
	v_add_f64 v[14:15], v[160:161], -v[14:15]
	v_fma_f64 v[22:23], v[22:23], -0.5, v[18:19]
	v_add_f64 v[18:19], v[18:19], v[12:13]
	v_add_f64 v[12:13], v[162:163], -v[12:13]
	v_add_f64 v[16:17], v[16:17], v[160:161]
	v_add_f64 v[14:15], v[14:15], v[32:33]
	;; [unrolled: 1-line block ×6, first 2 shown]
	v_add_f64 v[16:17], v[164:165], -v[232:233]
	v_add_f64 v[230:231], v[18:19], v[232:233]
	v_fma_f64 v[18:19], v[26:27], s[16:17], v[20:21]
	v_fma_f64 v[20:21], v[26:27], s[14:15], v[20:21]
	;; [unrolled: 1-line block ×4, first 2 shown]
	v_add_f64 v[16:17], v[12:13], v[16:17]
	v_add_f64 v[30:31], v[174:175], -v[176:177]
	v_fma_f64 v[12:13], v[24:25], s[2:3], v[18:19]
	v_fma_f64 v[18:19], v[24:25], s[4:5], v[20:21]
	;; [unrolled: 1-line block ×4, first 2 shown]
	v_add_f64 v[24:25], v[170:171], v[178:179]
	v_add_f64 v[26:27], v[174:175], v[176:177]
	v_add_f64 v[28:29], v[172:173], -v[236:237]
	v_fma_f64 v[232:233], v[14:15], s[12:13], v[12:13]
	v_fma_f64 v[12:13], v[14:15], s[12:13], v[18:19]
	;; [unrolled: 1-line block ×4, first 2 shown]
	v_add_f64 v[16:17], v[168:169], -v[170:171]
	v_add_f64 v[18:19], v[238:239], -v[178:179]
	v_add_f64 v[20:21], v[16:17], v[18:19]
	v_add_f64 v[16:17], v[172:173], -v[174:175]
	v_add_f64 v[18:19], v[236:237], -v[176:177]
	v_add_f64 v[22:23], v[16:17], v[18:19]
	ds_read_b128 v[16:19], v148 offset:5760
	s_waitcnt lgkmcnt(0)
	v_fma_f64 v[24:25], v[24:25], -0.5, v[16:17]
	v_fma_f64 v[26:27], v[26:27], -0.5, v[18:19]
	v_fma_f64 v[32:33], v[28:29], s[14:15], v[24:25]
	v_fma_f64 v[38:39], v[34:35], s[16:17], v[26:27]
	;; [unrolled: 1-line block ×12, first 2 shown]
	v_add_f64 v[20:21], v[168:169], v[238:239]
	v_add_f64 v[22:23], v[172:173], v[236:237]
	v_add_f64 v[24:25], v[170:171], -v[168:169]
	v_fma_f64 v[20:21], v[20:21], -0.5, v[16:17]
	v_fma_f64 v[22:23], v[22:23], -0.5, v[18:19]
	v_add_f64 v[16:17], v[16:17], v[168:169]
	v_add_f64 v[18:19], v[18:19], v[172:173]
	v_fma_f64 v[26:27], v[30:31], s[16:17], v[20:21]
	v_fma_f64 v[20:21], v[30:31], s[14:15], v[20:21]
	v_add_f64 v[16:17], v[16:17], v[170:171]
	v_add_f64 v[18:19], v[18:19], v[174:175]
	v_add_f64 v[30:31], v[178:179], -v[238:239]
	v_fma_f64 v[32:33], v[36:37], s[14:15], v[22:23]
	v_fma_f64 v[22:23], v[36:37], s[16:17], v[22:23]
	;; [unrolled: 1-line block ×4, first 2 shown]
	v_add_f64 v[16:17], v[16:17], v[178:179]
	v_add_f64 v[18:19], v[18:19], v[176:177]
	;; [unrolled: 1-line block ×3, first 2 shown]
	v_fma_f64 v[22:23], v[34:35], s[2:3], v[22:23]
	v_add_f64 v[168:169], v[16:17], v[238:239]
	v_add_f64 v[170:171], v[18:19], v[236:237]
	v_add_f64 v[16:17], v[174:175], -v[172:173]
	v_add_f64 v[18:19], v[176:177], -v[236:237]
	v_fma_f64 v[172:173], v[24:25], s[12:13], v[26:27]
	v_fma_f64 v[176:177], v[24:25], s[12:13], v[20:21]
	v_add_f64 v[16:17], v[16:17], v[18:19]
	v_fma_f64 v[18:19], v[34:35], s[4:5], v[32:33]
	v_fma_f64 v[178:179], v[16:17], s[12:13], v[22:23]
	;; [unrolled: 1-line block ×3, first 2 shown]
	ds_write_b128 v148, v[180:183] offset:7200
	ds_write_b128 v148, v[188:191] offset:14400
	;; [unrolled: 1-line block ×22, first 2 shown]
	buffer_load_dword v50, off, s[24:27], 0 offset:4 ; 4-byte Folded Reload
	v_add_co_u32 v0, s1, 0x8800, v149
	ds_write_b128 v148, v[160:163] offset:34560
	s_waitcnt vmcnt(0) lgkmcnt(0)
	s_waitcnt_vscnt null, 0x0
	s_barrier
	buffer_gl0_inv
	v_add_co_ci_u32_e64 v1, s1, 0, v50, s1
	buffer_store_dword v0, off, s[24:27], 0 offset:1392 ; 4-byte Folded Spill
	buffer_store_dword v1, off, s[24:27], 0 offset:1396 ; 4-byte Folded Spill
	ds_read_b128 v[6:9], v148
	ds_read_b128 v[52:55], v148 offset:33840
	ds_read_b128 v[14:17], v148 offset:14400
	;; [unrolled: 1-line block ×5, first 2 shown]
	global_load_dwordx4 v[2:5], v[0:1], off offset:1184
	s_waitcnt vmcnt(0) lgkmcnt(5)
	v_mul_f64 v[0:1], v[8:9], v[4:5]
	v_mul_f64 v[4:5], v[6:7], v[4:5]
	v_fma_f64 v[0:1], v[6:7], v[2:3], -v[0:1]
	v_fma_f64 v[2:3], v[8:9], v[2:3], v[4:5]
	v_add_co_u32 v4, s1, 0x9800, v149
	v_add_co_ci_u32_e64 v5, s1, 0, v50, s1
	ds_read_b128 v[8:11], v148 offset:3600
	v_add_co_u32 v26, s1, 0xa800, v149
	global_load_dwordx4 v[4:7], v[4:5], off offset:688
	v_add_co_ci_u32_e64 v27, s1, 0, v50, s1
	s_waitcnt vmcnt(0) lgkmcnt(0)
	v_mul_f64 v[12:13], v[10:11], v[6:7]
	v_mul_f64 v[6:7], v[8:9], v[6:7]
	v_fma_f64 v[180:181], v[8:9], v[4:5], -v[12:13]
	v_fma_f64 v[182:183], v[10:11], v[4:5], v[6:7]
	global_load_dwordx4 v[4:7], v[26:27], off offset:192
	ds_read_b128 v[8:11], v148 offset:7200
	s_waitcnt vmcnt(0) lgkmcnt(0)
	v_mul_f64 v[12:13], v[10:11], v[6:7]
	v_mul_f64 v[6:7], v[8:9], v[6:7]
	v_fma_f64 v[184:185], v[8:9], v[4:5], -v[12:13]
	v_fma_f64 v[186:187], v[10:11], v[4:5], v[6:7]
	v_add_co_u32 v4, s1, 0xb000, v149
	v_add_co_ci_u32_e64 v5, s1, 0, v50, s1
	ds_read_b128 v[10:13], v148 offset:10800
	global_load_dwordx4 v[6:9], v[4:5], off offset:1744
	s_waitcnt vmcnt(0) lgkmcnt(0)
	v_mul_f64 v[4:5], v[12:13], v[8:9]
	v_mul_f64 v[8:9], v[10:11], v[8:9]
	v_fma_f64 v[4:5], v[10:11], v[6:7], -v[4:5]
	v_fma_f64 v[6:7], v[12:13], v[6:7], v[8:9]
	v_add_co_u32 v8, s1, 0xc000, v149
	v_add_co_ci_u32_e64 v9, s1, 0, v50, s1
	global_load_dwordx4 v[10:13], v[8:9], off offset:1248
	s_waitcnt vmcnt(0)
	v_mul_f64 v[8:9], v[16:17], v[12:13]
	v_mul_f64 v[12:13], v[14:15], v[12:13]
	v_fma_f64 v[8:9], v[14:15], v[10:11], -v[8:9]
	v_fma_f64 v[10:11], v[16:17], v[10:11], v[12:13]
	v_add_co_u32 v12, s1, 0xd000, v149
	v_add_co_ci_u32_e64 v13, s1, 0, v50, s1
	v_add_co_u32 v32, s1, 0xe000, v149
	v_add_co_ci_u32_e64 v33, s1, 0, v50, s1
	global_load_dwordx4 v[14:17], v[12:13], off offset:752
	s_waitcnt vmcnt(0)
	v_mul_f64 v[12:13], v[20:21], v[16:17]
	v_mul_f64 v[16:17], v[18:19], v[16:17]
	v_fma_f64 v[12:13], v[18:19], v[14:15], -v[12:13]
	v_fma_f64 v[14:15], v[20:21], v[14:15], v[16:17]
	global_load_dwordx4 v[16:19], v[32:33], off offset:256
	ds_read_b128 v[20:23], v148 offset:21600
	s_waitcnt vmcnt(0) lgkmcnt(0)
	v_mul_f64 v[24:25], v[22:23], v[18:19]
	v_mul_f64 v[18:19], v[20:21], v[18:19]
	v_fma_f64 v[188:189], v[20:21], v[16:17], -v[24:25]
	v_fma_f64 v[190:191], v[22:23], v[16:17], v[18:19]
	v_add_co_u32 v16, s1, 0xe800, v149
	v_add_co_ci_u32_e64 v17, s1, 0, v50, s1
	ds_read_b128 v[20:23], v148 offset:25200
	global_load_dwordx4 v[16:19], v[16:17], off offset:1808
	s_waitcnt vmcnt(0) lgkmcnt(0)
	v_mul_f64 v[24:25], v[22:23], v[18:19]
	v_mul_f64 v[18:19], v[20:21], v[18:19]
	v_fma_f64 v[192:193], v[20:21], v[16:17], -v[24:25]
	v_fma_f64 v[194:195], v[22:23], v[16:17], v[18:19]
	v_add_co_u32 v16, s1, 0xf800, v149
	v_add_co_ci_u32_e64 v17, s1, 0, v50, s1
	ds_read_b128 v[20:23], v148 offset:28800
	global_load_dwordx4 v[16:19], v[16:17], off offset:1312
	;; [unrolled: 9-line block ×5, first 2 shown]
	s_waitcnt vmcnt(0) lgkmcnt(0)
	v_mul_f64 v[28:29], v[24:25], v[20:21]
	v_mul_f64 v[20:21], v[22:23], v[20:21]
	v_fma_f64 v[208:209], v[22:23], v[18:19], -v[28:29]
	v_fma_f64 v[210:211], v[24:25], v[18:19], v[20:21]
	global_load_dwordx4 v[18:21], v[26:27], off offset:1632
	ds_read_b128 v[22:25], v148 offset:8640
	s_waitcnt vmcnt(0) lgkmcnt(0)
	v_mul_f64 v[26:27], v[24:25], v[20:21]
	v_mul_f64 v[20:21], v[22:23], v[20:21]
	v_fma_f64 v[212:213], v[22:23], v[18:19], -v[26:27]
	v_fma_f64 v[214:215], v[24:25], v[18:19], v[20:21]
	v_add_co_u32 v18, s1, 0xb800, v149
	v_add_co_ci_u32_e64 v19, s1, 0, v50, s1
	ds_read_b128 v[22:25], v148 offset:12240
	global_load_dwordx4 v[18:21], v[18:19], off offset:1136
	s_waitcnt vmcnt(0) lgkmcnt(0)
	v_mul_f64 v[26:27], v[24:25], v[20:21]
	v_mul_f64 v[20:21], v[22:23], v[20:21]
	v_fma_f64 v[216:217], v[22:23], v[18:19], -v[26:27]
	v_fma_f64 v[218:219], v[24:25], v[18:19], v[20:21]
	v_add_co_u32 v18, s1, 0xc800, v149
	v_add_co_ci_u32_e64 v19, s1, 0, v50, s1
	ds_read_b128 v[22:25], v148 offset:15840
	global_load_dwordx4 v[18:21], v[18:19], off offset:640
	;; [unrolled: 9-line block ×3, first 2 shown]
	s_waitcnt vmcnt(0) lgkmcnt(0)
	v_mul_f64 v[18:19], v[30:31], v[26:27]
	v_mul_f64 v[34:35], v[28:29], v[26:27]
	v_fma_f64 v[26:27], v[28:29], v[24:25], -v[18:19]
	v_fma_f64 v[28:29], v[30:31], v[24:25], v[34:35]
	global_load_dwordx4 v[30:33], v[32:33], off offset:1696
	ds_read_b128 v[34:37], v148 offset:23040
	s_waitcnt vmcnt(0) lgkmcnt(0)
	v_mul_f64 v[18:19], v[36:37], v[32:33]
	v_mul_f64 v[24:25], v[34:35], v[32:33]
	v_fma_f64 v[32:33], v[34:35], v[30:31], -v[18:19]
	v_add_co_u32 v18, s1, 0xf000, v149
	v_add_co_ci_u32_e64 v19, s1, 0, v50, s1
	v_fma_f64 v[34:35], v[36:37], v[30:31], v[24:25]
	global_load_dwordx4 v[36:39], v[18:19], off offset:1200
	s_waitcnt vmcnt(0)
	v_mul_f64 v[18:19], v[42:43], v[38:39]
	v_mul_f64 v[24:25], v[40:41], v[38:39]
	v_fma_f64 v[38:39], v[40:41], v[36:37], -v[18:19]
	v_add_co_u32 v18, s1, 0x10000, v149
	v_add_co_ci_u32_e64 v19, s1, 0, v50, s1
	v_fma_f64 v[40:41], v[42:43], v[36:37], v[24:25]
	global_load_dwordx4 v[42:45], v[18:19], off offset:704
	s_waitcnt vmcnt(0)
	;; [unrolled: 8-line block ×3, first 2 shown]
	v_mul_f64 v[18:19], v[54:55], v[50:51]
	v_mul_f64 v[24:25], v[52:53], v[50:51]
	v_fma_f64 v[50:51], v[52:53], v[48:49], -v[18:19]
	v_fma_f64 v[52:53], v[54:55], v[48:49], v[24:25]
	ds_write_b128 v148, v[0:3]
	ds_write_b128 v148, v[180:183] offset:3600
	ds_write_b128 v148, v[184:187] offset:7200
	;; [unrolled: 1-line block ×19, first 2 shown]
	s_and_saveexec_b32 s2, vcc_lo
	s_cbranch_execz .LBB0_17
; %bb.16:
	v_add_co_u32 v4, s1, 0x800, v16
	v_add_co_ci_u32_e64 v5, s1, 0, v17, s1
	ds_read_b128 v[0:3], v148 offset:2880
	global_load_dwordx4 v[4:7], v[4:5], off offset:832
	s_waitcnt vmcnt(0) lgkmcnt(0)
	v_mul_f64 v[8:9], v[2:3], v[6:7]
	v_fma_f64 v[8:9], v[0:1], v[4:5], -v[8:9]
	v_mul_f64 v[0:1], v[0:1], v[6:7]
	v_fma_f64 v[10:11], v[2:3], v[4:5], v[0:1]
	v_add_co_u32 v4, s1, 0x1800, v16
	v_add_co_ci_u32_e64 v5, s1, 0, v17, s1
	ds_read_b128 v[0:3], v148 offset:6480
	global_load_dwordx4 v[4:7], v[4:5], off offset:336
	ds_write_b128 v148, v[8:11] offset:2880
	s_waitcnt vmcnt(0) lgkmcnt(1)
	v_mul_f64 v[8:9], v[2:3], v[6:7]
	v_fma_f64 v[8:9], v[0:1], v[4:5], -v[8:9]
	v_mul_f64 v[0:1], v[0:1], v[6:7]
	v_fma_f64 v[10:11], v[2:3], v[4:5], v[0:1]
	v_add_co_u32 v4, s1, 0x2000, v16
	v_add_co_ci_u32_e64 v5, s1, 0, v17, s1
	ds_read_b128 v[0:3], v148 offset:10080
	global_load_dwordx4 v[4:7], v[4:5], off offset:1888
	ds_write_b128 v148, v[8:11] offset:6480
	;; [unrolled: 10-line block ×9, first 2 shown]
	s_waitcnt vmcnt(0) lgkmcnt(1)
	v_mul_f64 v[8:9], v[2:3], v[6:7]
	v_fma_f64 v[8:9], v[0:1], v[4:5], -v[8:9]
	v_mul_f64 v[0:1], v[0:1], v[6:7]
	v_fma_f64 v[10:11], v[2:3], v[4:5], v[0:1]
	ds_write_b128 v148, v[8:11] offset:35280
.LBB0_17:
	s_or_b32 exec_lo, exec_lo, s2
	s_waitcnt lgkmcnt(0)
	s_waitcnt_vscnt null, 0x0
	s_barrier
	buffer_gl0_inv
	ds_read_b128 v[204:207], v148 offset:3600
	ds_read_b128 v[240:243], v148 offset:1440
	;; [unrolled: 1-line block ×18, first 2 shown]
	ds_read_b128 v[224:227], v148
	ds_read_b128 v[196:199], v148 offset:33840
	s_and_saveexec_b32 s1, vcc_lo
	s_cbranch_execz .LBB0_19
; %bb.18:
	ds_read_b128 v[164:167], v148 offset:6480
	ds_read_b128 v[172:175], v148 offset:10080
	;; [unrolled: 1-line block ×10, first 2 shown]
.LBB0_19:
	s_or_b32 exec_lo, exec_lo, s1
	s_waitcnt lgkmcnt(9)
	v_add_f64 v[18:19], v[212:213], v[216:217]
	s_waitcnt lgkmcnt(5)
	v_add_f64 v[24:25], v[210:211], -v[222:223]
	s_mov_b32 s4, 0x134454ff
	s_mov_b32 s5, 0xbfee6f0e
	s_mov_b32 s15, 0x3fee6f0e
	s_mov_b32 s14, s4
	v_add_f64 v[26:27], v[214:215], -v[218:219]
	v_add_f64 v[22:23], v[208:209], -v[212:213]
	;; [unrolled: 1-line block ×3, first 2 shown]
	s_mov_b32 s12, 0x4755a5e
	s_mov_b32 s13, 0xbfe2cf23
	;; [unrolled: 1-line block ×6, first 2 shown]
	v_add_f64 v[30:31], v[212:213], -v[208:209]
	v_add_f64 v[32:33], v[216:217], -v[220:221]
	;; [unrolled: 1-line block ×7, first 2 shown]
	s_waitcnt lgkmcnt(1)
	v_fma_f64 v[20:21], v[18:19], -0.5, v[224:225]
	v_add_f64 v[44:45], v[10:11], -v[14:15]
	v_add_f64 v[46:47], v[4:5], -v[8:9]
	;; [unrolled: 1-line block ×4, first 2 shown]
	s_mov_b32 s19, 0xbfd3c6ef
	s_mov_b32 s18, s2
	v_add_f64 v[16:17], v[224:225], v[208:209]
	v_add_f64 v[22:23], v[22:23], v[28:29]
	s_mov_b32 s20, 0x9b97f4a8
	s_mov_b32 s21, 0x3fe9e377
	s_mov_b32 s23, 0xbfe9e377
	s_mov_b32 s22, s20
	v_add_f64 v[150:151], v[178:179], -v[158:159]
	s_waitcnt lgkmcnt(0)
	s_barrier
	v_add_f64 v[30:31], v[30:31], v[32:33]
	v_add_f64 v[32:33], v[210:211], -v[214:215]
	buffer_gl0_inv
	v_add_f64 v[40:41], v[40:41], v[42:43]
	v_fma_f64 v[18:19], v[24:25], s[4:5], v[20:21]
	v_fma_f64 v[20:21], v[24:25], s[14:15], v[20:21]
	v_add_f64 v[46:47], v[46:47], v[48:49]
	v_add_f64 v[48:49], v[8:9], -v[4:5]
	v_add_f64 v[16:17], v[16:17], v[212:213]
	v_add_f64 v[32:33], v[32:33], v[38:39]
	v_fma_f64 v[18:19], v[26:27], s[12:13], v[18:19]
	v_fma_f64 v[20:21], v[26:27], s[16:17], v[20:21]
	v_add_f64 v[48:49], v[48:49], v[50:51]
	v_add_f64 v[16:17], v[16:17], v[216:217]
	v_fma_f64 v[18:19], v[22:23], s[2:3], v[18:19]
	v_fma_f64 v[20:21], v[22:23], s[2:3], v[20:21]
	v_add_f64 v[22:23], v[208:209], v[220:221]
	v_add_f64 v[16:17], v[16:17], v[220:221]
	v_fma_f64 v[28:29], v[22:23], -0.5, v[224:225]
	v_fma_f64 v[22:23], v[26:27], s[14:15], v[28:29]
	v_fma_f64 v[26:27], v[26:27], s[4:5], v[28:29]
	v_add_f64 v[28:29], v[214:215], v[218:219]
	v_fma_f64 v[22:23], v[24:25], s[12:13], v[22:23]
	v_fma_f64 v[24:25], v[24:25], s[16:17], v[26:27]
	v_add_f64 v[26:27], v[226:227], v[210:211]
	v_fma_f64 v[22:23], v[30:31], s[2:3], v[22:23]
	v_fma_f64 v[24:25], v[30:31], s[2:3], v[24:25]
	v_fma_f64 v[30:31], v[28:29], -0.5, v[226:227]
	v_add_f64 v[26:27], v[26:27], v[214:215]
	v_fma_f64 v[28:29], v[34:35], s[14:15], v[30:31]
	v_fma_f64 v[30:31], v[34:35], s[4:5], v[30:31]
	v_add_f64 v[26:27], v[26:27], v[218:219]
	v_fma_f64 v[28:29], v[36:37], s[16:17], v[28:29]
	v_fma_f64 v[30:31], v[36:37], s[12:13], v[30:31]
	v_add_f64 v[26:27], v[26:27], v[222:223]
	v_fma_f64 v[28:29], v[32:33], s[2:3], v[28:29]
	v_fma_f64 v[30:31], v[32:33], s[2:3], v[30:31]
	v_add_f64 v[32:33], v[210:211], v[222:223]
	v_fma_f64 v[38:39], v[32:33], -0.5, v[226:227]
	v_fma_f64 v[32:33], v[36:37], s[4:5], v[38:39]
	v_fma_f64 v[36:37], v[36:37], s[14:15], v[38:39]
	v_add_f64 v[38:39], v[8:9], v[12:13]
	v_fma_f64 v[32:33], v[34:35], s[16:17], v[32:33]
	v_fma_f64 v[34:35], v[34:35], s[12:13], v[36:37]
	v_fma_f64 v[38:39], v[38:39], -0.5, v[204:205]
	v_add_f64 v[36:37], v[204:205], v[4:5]
	v_fma_f64 v[32:33], v[40:41], s[2:3], v[32:33]
	v_fma_f64 v[34:35], v[40:41], s[2:3], v[34:35]
	v_add_f64 v[40:41], v[6:7], -v[202:203]
	v_add_f64 v[36:37], v[36:37], v[8:9]
	v_add_f64 v[8:9], v[8:9], -v[12:13]
	v_fma_f64 v[42:43], v[40:41], s[4:5], v[38:39]
	v_fma_f64 v[38:39], v[40:41], s[14:15], v[38:39]
	v_add_f64 v[36:37], v[36:37], v[12:13]
	v_fma_f64 v[42:43], v[44:45], s[12:13], v[42:43]
	v_fma_f64 v[38:39], v[44:45], s[16:17], v[38:39]
	v_add_f64 v[36:37], v[36:37], v[200:201]
	v_fma_f64 v[218:219], v[46:47], s[2:3], v[42:43]
	v_add_f64 v[42:43], v[4:5], v[200:201]
	v_fma_f64 v[38:39], v[46:47], s[2:3], v[38:39]
	v_add_f64 v[4:5], v[4:5], -v[200:201]
	v_add_f64 v[200:201], v[16:17], v[36:37]
	v_add_f64 v[236:237], v[16:17], -v[36:37]
	v_add_f64 v[16:17], v[0:1], -v[252:253]
	;; [unrolled: 1-line block ×3, first 2 shown]
	v_fma_f64 v[42:43], v[42:43], -0.5, v[204:205]
	v_fma_f64 v[46:47], v[44:45], s[14:15], v[42:43]
	v_fma_f64 v[42:43], v[44:45], s[4:5], v[42:43]
	v_add_f64 v[44:45], v[202:203], -v[14:15]
	v_fma_f64 v[46:47], v[40:41], s[12:13], v[46:47]
	v_fma_f64 v[40:41], v[40:41], s[16:17], v[42:43]
	;; [unrolled: 1-line block ×4, first 2 shown]
	v_add_f64 v[40:41], v[206:207], v[6:7]
	v_add_f64 v[46:47], v[194:195], -v[198:199]
	v_add_f64 v[40:41], v[40:41], v[10:11]
	v_add_f64 v[40:41], v[40:41], v[14:15]
	;; [unrolled: 1-line block ×4, first 2 shown]
	v_add_f64 v[238:239], v[26:27], -v[222:223]
	v_fma_f64 v[40:41], v[40:41], -0.5, v[206:207]
	v_fma_f64 v[42:43], v[4:5], s[14:15], v[40:41]
	v_fma_f64 v[40:41], v[4:5], s[4:5], v[40:41]
	;; [unrolled: 1-line block ×3, first 2 shown]
	v_add_f64 v[42:43], v[6:7], -v[10:11]
	v_fma_f64 v[40:41], v[8:9], s[12:13], v[40:41]
	v_add_f64 v[42:43], v[42:43], v[44:45]
	v_fma_f64 v[12:13], v[42:43], s[2:3], v[12:13]
	v_fma_f64 v[40:41], v[42:43], s[2:3], v[40:41]
	v_add_f64 v[42:43], v[6:7], v[202:203]
	v_add_f64 v[6:7], v[10:11], -v[6:7]
	v_add_f64 v[10:11], v[14:15], -v[202:203]
	v_add_f64 v[202:203], v[26:27], v[222:223]
	v_fma_f64 v[42:43], v[42:43], -0.5, v[206:207]
	v_add_f64 v[6:7], v[6:7], v[10:11]
	v_fma_f64 v[44:45], v[8:9], s[4:5], v[42:43]
	v_fma_f64 v[8:9], v[8:9], s[14:15], v[42:43]
	v_mul_f64 v[42:43], v[40:41], s[12:13]
	v_mul_f64 v[40:41], v[40:41], s[22:23]
	v_fma_f64 v[44:45], v[4:5], s[16:17], v[44:45]
	v_fma_f64 v[4:5], v[4:5], s[12:13], v[8:9]
	;; [unrolled: 1-line block ×4, first 2 shown]
	v_add_f64 v[40:41], v[186:187], -v[190:191]
	v_fma_f64 v[10:11], v[6:7], s[2:3], v[44:45]
	v_fma_f64 v[4:5], v[6:7], s[2:3], v[4:5]
	v_mul_f64 v[44:45], v[218:219], s[16:17]
	v_mul_f64 v[6:7], v[12:13], s[12:13]
	v_add_f64 v[216:217], v[20:21], v[42:43]
	v_add_f64 v[220:221], v[20:21], -v[42:43]
	v_add_f64 v[20:21], v[252:253], -v[0:1]
	;; [unrolled: 1-line block ×4, first 2 shown]
	v_mul_f64 v[8:9], v[10:11], s[4:5]
	v_mul_f64 v[14:15], v[4:5], s[4:5]
	;; [unrolled: 1-line block ×3, first 2 shown]
	v_fma_f64 v[12:13], v[12:13], s[20:21], v[44:45]
	v_fma_f64 v[6:7], v[218:219], s[20:21], v[6:7]
	v_mul_f64 v[10:11], v[10:11], s[2:3]
	v_add_f64 v[218:219], v[30:31], v[38:39]
	v_add_f64 v[30:31], v[184:185], -v[188:189]
	v_add_f64 v[40:41], v[40:41], v[42:43]
	v_add_f64 v[44:45], v[190:191], -v[186:187]
	v_fma_f64 v[8:9], v[210:211], s[2:3], v[8:9]
	v_fma_f64 v[14:15], v[214:215], s[18:19], v[14:15]
	;; [unrolled: 1-line block ×3, first 2 shown]
	v_add_f64 v[206:207], v[28:29], v[12:13]
	v_add_f64 v[234:235], v[28:29], -v[12:13]
	v_add_f64 v[204:205], v[18:19], v[6:7]
	v_fma_f64 v[10:11], v[210:211], s[14:15], v[10:11]
	v_add_f64 v[232:233], v[18:19], -v[6:7]
	v_add_f64 v[6:7], v[246:247], -v[2:3]
	;; [unrolled: 1-line block ×3, first 2 shown]
	v_add_f64 v[44:45], v[44:45], v[46:47]
	v_add_f64 v[208:209], v[22:23], v[8:9]
	;; [unrolled: 1-line block ×4, first 2 shown]
	v_add_f64 v[226:227], v[34:35], -v[4:5]
	v_add_f64 v[4:5], v[240:241], v[244:245]
	v_add_f64 v[228:229], v[22:23], -v[8:9]
	v_add_f64 v[210:211], v[32:33], v[10:11]
	v_add_f64 v[224:225], v[24:25], -v[14:15]
	v_add_f64 v[230:231], v[32:33], -v[10:11]
	;; [unrolled: 1-line block ×4, first 2 shown]
	v_add_f64 v[20:21], v[18:19], v[20:21]
	v_add_f64 v[24:25], v[2:3], -v[254:255]
	v_add_f64 v[32:33], v[196:197], -v[192:193]
	;; [unrolled: 1-line block ×3, first 2 shown]
	v_add_f64 v[4:5], v[4:5], v[248:249]
	v_add_f64 v[16:17], v[14:15], v[16:17]
	;; [unrolled: 1-line block ×7, first 2 shown]
	v_fma_f64 v[4:5], v[4:5], -0.5, v[240:241]
	v_fma_f64 v[8:9], v[6:7], s[4:5], v[4:5]
	v_fma_f64 v[4:5], v[6:7], s[14:15], v[4:5]
	;; [unrolled: 1-line block ×6, first 2 shown]
	v_add_f64 v[4:5], v[244:245], v[0:1]
	v_add_f64 v[0:1], v[244:245], -v[0:1]
	v_fma_f64 v[4:5], v[4:5], -0.5, v[240:241]
	v_fma_f64 v[8:9], v[10:11], s[14:15], v[4:5]
	v_fma_f64 v[4:5], v[10:11], s[4:5], v[4:5]
	v_add_f64 v[10:11], v[246:247], -v[250:251]
	v_fma_f64 v[8:9], v[6:7], s[12:13], v[8:9]
	v_fma_f64 v[4:5], v[6:7], s[16:17], v[4:5]
	v_add_f64 v[10:11], v[10:11], v[24:25]
	v_fma_f64 v[18:19], v[20:21], s[2:3], v[8:9]
	v_fma_f64 v[20:21], v[20:21], s[2:3], v[4:5]
	v_add_f64 v[4:5], v[242:243], v[246:247]
	v_add_f64 v[8:9], v[248:249], -v[252:253]
	v_add_f64 v[4:5], v[4:5], v[250:251]
	v_add_f64 v[4:5], v[4:5], v[254:255]
	;; [unrolled: 1-line block ×4, first 2 shown]
	v_fma_f64 v[4:5], v[4:5], -0.5, v[242:243]
	v_fma_f64 v[6:7], v[0:1], s[14:15], v[4:5]
	v_fma_f64 v[4:5], v[0:1], s[4:5], v[4:5]
	;; [unrolled: 1-line block ×6, first 2 shown]
	v_add_f64 v[4:5], v[246:247], v[2:3]
	v_add_f64 v[10:11], v[250:251], -v[246:247]
	v_add_f64 v[2:3], v[254:255], -v[2:3]
	v_fma_f64 v[4:5], v[4:5], -0.5, v[242:243]
	v_add_f64 v[2:3], v[10:11], v[2:3]
	v_add_f64 v[10:11], v[190:191], -v[194:195]
	v_fma_f64 v[6:7], v[8:9], s[4:5], v[4:5]
	v_fma_f64 v[4:5], v[8:9], s[14:15], v[4:5]
	;; [unrolled: 1-line block ×4, first 2 shown]
	v_add_f64 v[4:5], v[188:189], v[192:193]
	v_fma_f64 v[28:29], v[2:3], s[2:3], v[6:7]
	v_add_f64 v[6:7], v[186:187], -v[198:199]
	v_fma_f64 v[4:5], v[4:5], -0.5, v[180:181]
	v_fma_f64 v[2:3], v[2:3], s[2:3], v[0:1]
	v_add_f64 v[0:1], v[180:181], v[184:185]
	v_fma_f64 v[8:9], v[6:7], s[4:5], v[4:5]
	v_fma_f64 v[4:5], v[6:7], s[14:15], v[4:5]
	v_add_f64 v[0:1], v[0:1], v[188:189]
	v_fma_f64 v[8:9], v[10:11], s[12:13], v[8:9]
	;; [unrolled: 3-line block ×3, first 2 shown]
	v_fma_f64 v[30:31], v[30:31], s[2:3], v[4:5]
	v_add_f64 v[4:5], v[184:185], v[196:197]
	v_add_f64 v[0:1], v[0:1], v[196:197]
	v_fma_f64 v[4:5], v[4:5], -0.5, v[180:181]
	v_add_f64 v[180:181], v[90:91], -v[106:107]
	v_fma_f64 v[8:9], v[10:11], s[14:15], v[4:5]
	v_fma_f64 v[4:5], v[10:11], s[4:5], v[4:5]
	v_add_f64 v[10:11], v[188:189], -v[192:193]
	v_add_f64 v[150:151], v[150:151], v[180:181]
	v_fma_f64 v[8:9], v[6:7], s[12:13], v[8:9]
	v_fma_f64 v[4:5], v[6:7], s[16:17], v[4:5]
	v_add_f64 v[6:7], v[184:185], -v[196:197]
	v_fma_f64 v[36:37], v[34:35], s[2:3], v[8:9]
	v_fma_f64 v[34:35], v[34:35], s[2:3], v[4:5]
	v_add_f64 v[4:5], v[182:183], v[186:187]
	v_add_f64 v[4:5], v[4:5], v[190:191]
	;; [unrolled: 1-line block ×5, first 2 shown]
	v_fma_f64 v[4:5], v[4:5], -0.5, v[182:183]
	v_fma_f64 v[8:9], v[6:7], s[14:15], v[4:5]
	v_fma_f64 v[4:5], v[6:7], s[4:5], v[4:5]
	;; [unrolled: 1-line block ×6, first 2 shown]
	v_add_f64 v[4:5], v[186:187], v[198:199]
	v_fma_f64 v[4:5], v[4:5], -0.5, v[182:183]
	v_fma_f64 v[8:9], v[10:11], s[4:5], v[4:5]
	v_fma_f64 v[4:5], v[10:11], s[14:15], v[4:5]
	v_add_f64 v[10:11], v[22:23], v[38:39]
	v_fma_f64 v[8:9], v[6:7], s[16:17], v[8:9]
	v_fma_f64 v[4:5], v[6:7], s[12:13], v[4:5]
	;; [unrolled: 1-line block ×4, first 2 shown]
	v_mul_f64 v[4:5], v[42:43], s[12:13]
	v_add_f64 v[8:9], v[12:13], v[0:1]
	v_add_f64 v[12:13], v[12:13], -v[0:1]
	v_mul_f64 v[6:7], v[46:47], s[4:5]
	v_fma_f64 v[48:49], v[32:33], s[20:21], v[4:5]
	v_fma_f64 v[50:51], v[36:37], s[2:3], v[6:7]
	v_mul_f64 v[6:7], v[44:45], s[4:5]
	v_add_f64 v[4:5], v[14:15], v[48:49]
	v_add_f64 v[252:253], v[14:15], -v[48:49]
	v_add_f64 v[14:15], v[22:23], -v[38:39]
	;; [unrolled: 1-line block ×5, first 2 shown]
	v_add_f64 v[248:249], v[18:19], v[50:51]
	v_fma_f64 v[52:53], v[34:35], s[18:19], v[6:7]
	v_mul_f64 v[6:7], v[40:41], s[12:13]
	v_mul_f64 v[40:41], v[40:41], s[22:23]
	v_add_f64 v[240:241], v[18:19], -v[50:51]
	v_add_f64 v[18:19], v[160:161], v[152:153]
	v_add_f64 v[244:245], v[20:21], v[52:53]
	v_fma_f64 v[54:55], v[30:31], s[22:23], v[6:7]
	v_mul_f64 v[6:7], v[32:33], s[16:17]
	v_fma_f64 v[30:31], v[30:31], s[16:17], v[40:41]
	v_add_f64 v[40:41], v[178:179], -v[90:91]
	v_add_f64 v[192:193], v[20:21], -v[52:53]
	v_fma_f64 v[20:21], v[18:19], -0.5, v[168:169]
	v_add_f64 v[196:197], v[16:17], v[54:55]
	v_fma_f64 v[32:33], v[42:43], s[20:21], v[6:7]
	v_mul_f64 v[42:43], v[46:47], s[2:3]
	v_add_f64 v[46:47], v[176:177], -v[156:157]
	v_add_f64 v[0:1], v[16:17], -v[54:55]
	v_add_f64 v[198:199], v[26:27], v[30:31]
	v_add_f64 v[16:17], v[168:169], v[172:173]
	;; [unrolled: 1-line block ×3, first 2 shown]
	v_fma_f64 v[36:37], v[36:37], s[14:15], v[42:43]
	v_mul_f64 v[42:43], v[44:45], s[18:19]
	v_add_f64 v[46:47], v[46:47], v[48:49]
	v_add_f64 v[48:49], v[156:157], -v[104:105]
	v_add_f64 v[254:255], v[24:25], -v[32:33]
	;; [unrolled: 1-line block ×4, first 2 shown]
	v_add_f64 v[16:17], v[16:17], v[160:161]
	v_add_f64 v[250:251], v[28:29], v[36:37]
	v_add_f64 v[242:243], v[28:29], -v[36:37]
	v_add_f64 v[36:37], v[174:175], -v[162:163]
	v_fma_f64 v[34:35], v[34:35], s[14:15], v[42:43]
	v_add_f64 v[42:43], v[158:159], -v[106:107]
	v_add_f64 v[28:29], v[162:163], -v[154:155]
	v_add_f64 v[22:23], v[22:23], v[24:25]
	v_add_f64 v[16:17], v[16:17], v[152:153]
	;; [unrolled: 1-line block ×5, first 2 shown]
	v_add_f64 v[194:195], v[2:3], -v[34:35]
	v_add_f64 v[2:3], v[26:27], -v[30:31]
	v_add_f64 v[26:27], v[174:175], -v[102:103]
	v_add_f64 v[34:35], v[160:161], -v[152:153]
	v_add_f64 v[16:17], v[16:17], v[100:101]
	v_fma_f64 v[38:39], v[38:39], -0.5, v[164:165]
	v_fma_f64 v[18:19], v[26:27], s[4:5], v[20:21]
	v_fma_f64 v[20:21], v[26:27], s[14:15], v[20:21]
	;; [unrolled: 1-line block ×10, first 2 shown]
	v_add_f64 v[20:21], v[170:171], v[174:175]
	v_fma_f64 v[50:51], v[46:47], s[2:3], v[44:45]
	v_add_f64 v[44:45], v[158:159], v[106:107]
	v_fma_f64 v[54:55], v[46:47], s[2:3], v[38:39]
	v_add_f64 v[46:47], v[176:177], -v[88:89]
	v_add_f64 v[38:39], v[166:167], v[178:179]
	v_add_f64 v[20:21], v[20:21], v[162:163]
	v_fma_f64 v[44:45], v[44:45], -0.5, v[166:167]
	v_add_f64 v[38:39], v[38:39], v[158:159]
	v_add_f64 v[20:21], v[20:21], v[154:155]
	v_fma_f64 v[52:53], v[46:47], s[14:15], v[44:45]
	v_fma_f64 v[44:45], v[46:47], s[4:5], v[44:45]
	v_add_f64 v[38:39], v[38:39], v[106:107]
	v_add_f64 v[22:23], v[20:21], v[102:103]
	v_add_f64 v[20:21], v[162:163], v[154:155]
	v_fma_f64 v[52:53], v[48:49], s[16:17], v[52:53]
	v_fma_f64 v[44:45], v[48:49], s[12:13], v[44:45]
	v_add_f64 v[38:39], v[38:39], v[90:91]
	v_fma_f64 v[20:21], v[20:21], -0.5, v[170:171]
	v_fma_f64 v[182:183], v[150:151], s[2:3], v[52:53]
	v_fma_f64 v[150:151], v[150:151], s[2:3], v[44:45]
	v_add_f64 v[186:187], v[22:23], -v[38:39]
	v_fma_f64 v[24:25], v[32:33], s[14:15], v[20:21]
	v_fma_f64 v[20:21], v[32:33], s[4:5], v[20:21]
	v_mul_f64 v[44:45], v[182:183], s[12:13]
	v_mul_f64 v[52:53], v[150:151], s[12:13]
	v_mul_f64 v[150:151], v[150:151], s[22:23]
	v_fma_f64 v[24:25], v[34:35], s[16:17], v[24:25]
	v_fma_f64 v[20:21], v[34:35], s[12:13], v[20:21]
	;; [unrolled: 1-line block ×5, first 2 shown]
	buffer_load_dword v150, off, s[24:27], 0 offset:472 ; 4-byte Folded Reload
	v_mul_f64 v[50:51], v[50:51], s[16:17]
	s_waitcnt vmcnt(0)
	ds_write_b128 v150, v[200:203]
	ds_write_b128 v150, v[204:207] offset:16
	ds_write_b128 v150, v[208:211] offset:32
	;; [unrolled: 1-line block ×9, first 2 shown]
	buffer_load_dword v150, off, s[24:27], 0 offset:492 ; 4-byte Folded Reload
	v_fma_f64 v[24:25], v[36:37], s[2:3], v[24:25]
	v_fma_f64 v[36:37], v[36:37], s[2:3], v[20:21]
	v_add_f64 v[20:21], v[164:165], v[176:177]
	v_fma_f64 v[50:51], v[182:183], s[20:21], v[50:51]
	v_add_f64 v[180:181], v[30:31], v[52:53]
	v_add_f64 v[188:189], v[18:19], -v[44:45]
	s_waitcnt vmcnt(0)
	ds_write_b128 v150, v[8:11]
	ds_write_b128 v150, v[4:7] offset:16
	ds_write_b128 v150, v[248:251] offset:32
	;; [unrolled: 1-line block ×9, first 2 shown]
	v_add_f64 v[20:21], v[20:21], v[156:157]
	v_add_f64 v[182:183], v[36:37], v[54:55]
	v_add_f64 v[190:191], v[24:25], -v[50:51]
	v_add_f64 v[20:21], v[20:21], v[104:105]
	v_add_f64 v[20:21], v[20:21], v[88:89]
	v_add_f64 v[184:185], v[16:17], -v[20:21]
	s_and_saveexec_b32 s1, vcc_lo
	s_cbranch_execz .LBB0_21
; %bb.20:
	v_add_f64 v[0:1], v[162:163], -v[174:175]
	v_add_f64 v[4:5], v[154:155], -v[102:103]
	;; [unrolled: 1-line block ×5, first 2 shown]
	v_add_f64 v[20:21], v[16:17], v[20:21]
	buffer_load_dword v16, off, s[24:27], 0 offset:1356 ; 4-byte Folded Reload
	v_add_f64 v[22:23], v[22:23], v[38:39]
	v_add_f64 v[0:1], v[0:1], v[4:5]
	;; [unrolled: 1-line block ×3, first 2 shown]
	v_fma_f64 v[4:5], v[4:5], -0.5, v[170:171]
	v_fma_f64 v[6:7], v[34:35], s[14:15], v[4:5]
	v_fma_f64 v[4:5], v[34:35], s[4:5], v[4:5]
	;; [unrolled: 1-line block ×5, first 2 shown]
	v_add_f64 v[6:7], v[156:157], -v[176:177]
	v_fma_f64 v[32:33], v[0:1], s[2:3], v[4:5]
	v_add_f64 v[4:5], v[160:161], -v[172:173]
	v_add_f64 v[8:9], v[6:7], v[8:9]
	v_add_f64 v[6:7], v[176:177], v[88:89]
	v_fma_f64 v[10:11], v[6:7], -0.5, v[164:165]
	v_fma_f64 v[6:7], v[42:43], s[4:5], v[10:11]
	v_fma_f64 v[0:1], v[42:43], s[14:15], v[10:11]
	;; [unrolled: 1-line block ×5, first 2 shown]
	v_add_f64 v[6:7], v[158:159], -v[178:179]
	v_fma_f64 v[8:9], v[8:9], s[2:3], v[0:1]
	v_add_f64 v[36:37], v[6:7], v[36:37]
	v_add_f64 v[6:7], v[178:179], v[90:91]
	v_fma_f64 v[54:55], v[6:7], -0.5, v[166:167]
	v_fma_f64 v[0:1], v[48:49], s[4:5], v[54:55]
	v_fma_f64 v[6:7], v[48:49], s[14:15], v[54:55]
	;; [unrolled: 1-line block ×4, first 2 shown]
	s_waitcnt vmcnt(0)
	v_lshlrev_b32_e32 v16, 4, v16
	v_fma_f64 v[34:35], v[36:37], s[2:3], v[0:1]
	v_fma_f64 v[88:89], v[36:37], s[2:3], v[6:7]
	v_mul_f64 v[0:1], v[34:35], s[2:3]
	v_mul_f64 v[6:7], v[88:89], s[18:19]
	v_fma_f64 v[36:37], v[8:9], s[14:15], v[0:1]
	v_add_f64 v[0:1], v[30:31], -v[52:53]
	v_add_f64 v[30:31], v[152:153], -v[100:101]
	v_fma_f64 v[90:91], v[14:15], s[14:15], v[6:7]
	v_add_f64 v[10:11], v[32:33], -v[36:37]
	v_add_f64 v[30:31], v[4:5], v[30:31]
	v_add_f64 v[4:5], v[172:173], v[100:101]
	v_add_f64 v[6:7], v[12:13], -v[90:91]
	v_fma_f64 v[40:41], v[4:5], -0.5, v[168:169]
	v_fma_f64 v[4:5], v[28:29], s[4:5], v[40:41]
	v_fma_f64 v[4:5], v[26:27], s[16:17], v[4:5]
	;; [unrolled: 1-line block ×3, first 2 shown]
	v_mul_f64 v[4:5], v[88:89], s[4:5]
	v_fma_f64 v[46:47], v[14:15], s[18:19], v[4:5]
	v_fma_f64 v[14:15], v[28:29], s[14:15], v[40:41]
	v_add_f64 v[4:5], v[42:43], -v[46:47]
	v_fma_f64 v[14:15], v[26:27], s[12:13], v[14:15]
	v_add_f64 v[26:27], v[32:33], v[36:37]
	v_fma_f64 v[28:29], v[30:31], s[2:3], v[14:15]
	v_mul_f64 v[14:15], v[34:35], s[4:5]
	v_add_f64 v[30:31], v[24:25], v[50:51]
	v_fma_f64 v[34:35], v[8:9], s[2:3], v[14:15]
	v_add_f64 v[14:15], v[12:13], v[90:91]
	v_add_f64 v[12:13], v[42:43], v[46:47]
	v_add_f64 v[8:9], v[28:29], -v[34:35]
	v_add_f64 v[24:25], v[28:29], v[34:35]
	v_add_f64 v[28:29], v[18:19], v[44:45]
	ds_write_b128 v16, v[20:23]
	ds_write_b128 v16, v[28:31] offset:16
	ds_write_b128 v16, v[24:27] offset:32
	;; [unrolled: 1-line block ×9, first 2 shown]
.LBB0_21:
	s_or_b32 exec_lo, exec_lo, s1
	s_waitcnt lgkmcnt(0)
	s_barrier
	buffer_gl0_inv
	ds_read_b128 v[164:167], v148 offset:1440
	ds_read_b128 v[160:163], v148 offset:2880
	;; [unrolled: 1-line block ×22, first 2 shown]
	ds_read_b128 v[12:15], v148
	ds_read_b128 v[8:11], v148 offset:34080
	s_and_saveexec_b32 s1, s0
	s_cbranch_execz .LBB0_23
; %bb.22:
	ds_read_b128 v[184:187], v148 offset:23520
	ds_read_b128 v[180:183], v148 offset:11520
	;; [unrolled: 1-line block ×3, first 2 shown]
.LBB0_23:
	s_or_b32 exec_lo, exec_lo, s1
	s_clause 0x3
	buffer_load_dword v18, off, s[24:27], 0 offset:452
	buffer_load_dword v19, off, s[24:27], 0 offset:456
	;; [unrolled: 1-line block ×4, first 2 shown]
	s_mov_b32 s2, 0xe8584caa
	s_mov_b32 s3, 0xbfebb67a
	;; [unrolled: 1-line block ×4, first 2 shown]
	s_waitcnt vmcnt(0) lgkmcnt(5)
	v_mul_f64 v[16:17], v[20:21], v[230:231]
	v_fma_f64 v[52:53], v[18:19], v[228:229], v[16:17]
	v_mul_f64 v[16:17], v[20:21], v[228:229]
	v_fma_f64 v[54:55], v[18:19], v[230:231], -v[16:17]
	s_clause 0x3
	buffer_load_dword v18, off, s[24:27], 0 offset:436
	buffer_load_dword v19, off, s[24:27], 0 offset:440
	;; [unrolled: 1-line block ×4, first 2 shown]
	s_waitcnt vmcnt(0) lgkmcnt(3)
	v_mul_f64 v[16:17], v[20:21], v[226:227]
	v_fma_f64 v[150:151], v[18:19], v[224:225], v[16:17]
	v_mul_f64 v[16:17], v[20:21], v[224:225]
	v_fma_f64 v[224:225], v[18:19], v[226:227], -v[16:17]
	s_clause 0x3
	buffer_load_dword v18, off, s[24:27], 0 offset:1000
	buffer_load_dword v19, off, s[24:27], 0 offset:1004
	buffer_load_dword v20, off, s[24:27], 0 offset:1008
	buffer_load_dword v21, off, s[24:27], 0 offset:1012
	s_waitcnt vmcnt(0)
	v_mul_f64 v[16:17], v[20:21], v[222:223]
	v_fma_f64 v[226:227], v[18:19], v[220:221], v[16:17]
	v_mul_f64 v[16:17], v[20:21], v[220:221]
	v_fma_f64 v[220:221], v[18:19], v[222:223], -v[16:17]
	s_clause 0x3
	buffer_load_dword v18, off, s[24:27], 0 offset:984
	buffer_load_dword v19, off, s[24:27], 0 offset:988
	buffer_load_dword v20, off, s[24:27], 0 offset:992
	buffer_load_dword v21, off, s[24:27], 0 offset:996
	s_waitcnt vmcnt(0)
	;; [unrolled: 10-line block ×12, first 2 shown]
	v_mul_f64 v[16:17], v[20:21], v[154:155]
	v_fma_f64 v[36:37], v[18:19], v[152:153], v[16:17]
	v_mul_f64 v[16:17], v[20:21], v[152:153]
	v_fma_f64 v[38:39], v[18:19], v[154:155], -v[16:17]
	s_clause 0x3
	buffer_load_dword v18, off, s[24:27], 0 offset:888
	buffer_load_dword v19, off, s[24:27], 0 offset:892
	;; [unrolled: 1-line block ×4, first 2 shown]
	s_waitcnt vmcnt(0) lgkmcnt(2)
	v_mul_f64 v[16:17], v[20:21], v[158:159]
	v_fma_f64 v[24:25], v[18:19], v[156:157], v[16:17]
	v_mul_f64 v[16:17], v[20:21], v[156:157]
	v_fma_f64 v[26:27], v[18:19], v[158:159], -v[16:17]
	s_clause 0x3
	buffer_load_dword v18, off, s[24:27], 0 offset:904
	buffer_load_dword v19, off, s[24:27], 0 offset:908
	;; [unrolled: 1-line block ×4, first 2 shown]
	s_waitcnt vmcnt(0) lgkmcnt(0)
	v_mul_f64 v[16:17], v[20:21], v[10:11]
	v_fma_f64 v[28:29], v[18:19], v[8:9], v[16:17]
	v_mul_f64 v[8:9], v[20:21], v[8:9]
	v_fma_f64 v[30:31], v[18:19], v[10:11], -v[8:9]
	s_clause 0x7
	buffer_load_dword v18, off, s[24:27], 0 offset:952
	buffer_load_dword v19, off, s[24:27], 0 offset:956
	;; [unrolled: 1-line block ×8, first 2 shown]
	v_add_f64 v[10:11], v[52:53], v[150:151]
	s_waitcnt vmcnt(0)
	s_barrier
	buffer_gl0_inv
	v_fma_f64 v[10:11], v[10:11], -0.5, v[12:13]
	v_mul_f64 v[8:9], v[20:21], v[186:187]
	v_fma_f64 v[16:17], v[18:19], v[184:185], v[8:9]
	v_mul_f64 v[8:9], v[20:21], v[184:185]
	v_fma_f64 v[22:23], v[18:19], v[186:187], -v[8:9]
	v_mul_f64 v[8:9], v[154:155], v[190:191]
	v_fma_f64 v[18:19], v[152:153], v[188:189], v[8:9]
	v_mul_f64 v[8:9], v[154:155], v[188:189]
	v_fma_f64 v[20:21], v[152:153], v[190:191], -v[8:9]
	v_add_f64 v[8:9], v[12:13], v[52:53]
	v_add_f64 v[12:13], v[54:55], -v[224:225]
	v_add_f64 v[52:53], v[52:53], -v[150:151]
	v_add_f64 v[8:9], v[8:9], v[150:151]
	v_fma_f64 v[152:153], v[12:13], s[2:3], v[10:11]
	v_fma_f64 v[12:13], v[12:13], s[4:5], v[10:11]
	v_add_f64 v[10:11], v[14:15], v[54:55]
	v_add_f64 v[54:55], v[54:55], v[224:225]
	;; [unrolled: 1-line block ×3, first 2 shown]
	v_fma_f64 v[14:15], v[54:55], -0.5, v[14:15]
	v_add_f64 v[54:55], v[220:221], -v[218:219]
	v_fma_f64 v[154:155], v[52:53], s[4:5], v[14:15]
	v_fma_f64 v[14:15], v[52:53], s[2:3], v[14:15]
	v_add_f64 v[52:53], v[164:165], v[226:227]
	v_add_f64 v[156:157], v[52:53], v[222:223]
	;; [unrolled: 1-line block ×3, first 2 shown]
	v_fma_f64 v[52:53], v[52:53], -0.5, v[164:165]
	v_fma_f64 v[168:169], v[54:55], s[2:3], v[52:53]
	v_fma_f64 v[164:165], v[54:55], s[4:5], v[52:53]
	v_add_f64 v[52:53], v[166:167], v[220:221]
	v_add_f64 v[54:55], v[226:227], -v[222:223]
	v_add_f64 v[158:159], v[52:53], v[218:219]
	v_add_f64 v[52:53], v[220:221], v[218:219]
	v_fma_f64 v[52:53], v[52:53], -0.5, v[166:167]
	v_fma_f64 v[170:171], v[54:55], s[4:5], v[52:53]
	v_fma_f64 v[166:167], v[54:55], s[2:3], v[52:53]
	v_add_f64 v[52:53], v[160:161], v[216:217]
	v_add_f64 v[54:55], v[212:213], -v[228:229]
	v_add_f64 v[172:173], v[52:53], v[214:215]
	v_add_f64 v[52:53], v[216:217], v[214:215]
	;; [unrolled: 7-line block ×3, first 2 shown]
	v_fma_f64 v[52:53], v[52:53], -0.5, v[162:163]
	v_fma_f64 v[178:179], v[54:55], s[4:5], v[52:53]
	v_fma_f64 v[162:163], v[54:55], s[2:3], v[52:53]
	v_add_f64 v[52:53], v[4:5], v[50:51]
	v_add_f64 v[184:185], v[52:53], v[210:211]
	;; [unrolled: 1-line block ×3, first 2 shown]
	v_fma_f64 v[4:5], v[52:53], -0.5, v[4:5]
	v_add_f64 v[52:53], v[208:209], -v[200:201]
	v_fma_f64 v[192:193], v[52:53], s[2:3], v[4:5]
	v_fma_f64 v[188:189], v[52:53], s[4:5], v[4:5]
	v_add_f64 v[4:5], v[6:7], v[208:209]
	v_add_f64 v[186:187], v[4:5], v[200:201]
	;; [unrolled: 1-line block ×3, first 2 shown]
	v_fma_f64 v[4:5], v[4:5], -0.5, v[6:7]
	v_add_f64 v[6:7], v[50:51], -v[210:211]
	v_fma_f64 v[194:195], v[6:7], s[4:5], v[4:5]
	v_fma_f64 v[190:191], v[6:7], s[2:3], v[4:5]
	v_add_f64 v[4:5], v[104:105], v[42:43]
	v_add_f64 v[6:7], v[202:203], -v[48:49]
	v_add_f64 v[196:197], v[4:5], v[46:47]
	v_add_f64 v[4:5], v[42:43], v[46:47]
	v_fma_f64 v[4:5], v[4:5], -0.5, v[104:105]
	v_fma_f64 v[200:201], v[6:7], s[2:3], v[4:5]
	v_fma_f64 v[104:105], v[6:7], s[4:5], v[4:5]
	v_add_f64 v[4:5], v[106:107], v[202:203]
	v_add_f64 v[6:7], v[42:43], -v[46:47]
	v_add_f64 v[198:199], v[4:5], v[48:49]
	v_add_f64 v[4:5], v[202:203], v[48:49]
	v_fma_f64 v[4:5], v[4:5], -0.5, v[106:107]
	;; [unrolled: 7-line block ×6, first 2 shown]
	v_fma_f64 v[90:91], v[6:7], s[4:5], v[4:5]
	v_fma_f64 v[206:207], v[6:7], s[2:3], v[4:5]
	v_add_f64 v[4:5], v[0:1], v[24:25]
	v_add_f64 v[32:33], v[4:5], v[28:29]
	;; [unrolled: 1-line block ×3, first 2 shown]
	v_fma_f64 v[0:1], v[4:5], -0.5, v[0:1]
	v_add_f64 v[4:5], v[26:27], -v[30:31]
	v_fma_f64 v[36:37], v[4:5], s[2:3], v[0:1]
	v_fma_f64 v[208:209], v[4:5], s[4:5], v[0:1]
	v_add_f64 v[0:1], v[2:3], v[26:27]
	v_add_f64 v[4:5], v[22:23], -v[20:21]
	v_add_f64 v[34:35], v[0:1], v[30:31]
	v_add_f64 v[0:1], v[26:27], v[30:31]
	v_fma_f64 v[0:1], v[0:1], -0.5, v[2:3]
	v_add_f64 v[2:3], v[24:25], -v[28:29]
	v_add_f64 v[24:25], v[16:17], -v[18:19]
	v_fma_f64 v[38:39], v[2:3], s[4:5], v[0:1]
	v_fma_f64 v[210:211], v[2:3], s[2:3], v[0:1]
	v_add_f64 v[0:1], v[16:17], v[18:19]
	v_fma_f64 v[2:3], v[0:1], -0.5, v[180:181]
	v_fma_f64 v[0:1], v[4:5], s[2:3], v[2:3]
	v_fma_f64 v[4:5], v[4:5], s[4:5], v[2:3]
	v_add_f64 v[2:3], v[22:23], v[20:21]
	v_fma_f64 v[6:7], v[2:3], -0.5, v[182:183]
	v_fma_f64 v[2:3], v[24:25], s[4:5], v[6:7]
	v_fma_f64 v[6:7], v[24:25], s[2:3], v[6:7]
	buffer_load_dword v24, off, s[24:27], 0 offset:432 ; 4-byte Folded Reload
	s_waitcnt vmcnt(0)
	ds_write_b128 v24, v[8:11]
	ds_write_b128 v24, v[152:155] offset:160
	ds_write_b128 v24, v[12:15] offset:320
	buffer_load_dword v8, off, s[24:27], 0 offset:428 ; 4-byte Folded Reload
	s_waitcnt vmcnt(0)
	ds_write_b128 v8, v[156:159]
	ds_write_b128 v8, v[168:171] offset:160
	ds_write_b128 v8, v[164:167] offset:320
	;; [unrolled: 5-line block ×8, first 2 shown]
	s_and_saveexec_b32 s1, s0
	s_cbranch_execz .LBB0_25
; %bb.24:
	v_add_f64 v[8:9], v[182:183], v[22:23]
	v_add_f64 v[12:13], v[180:181], v[16:17]
	;; [unrolled: 1-line block ×4, first 2 shown]
	buffer_load_dword v13, off, s[24:27], 0 offset:480 ; 4-byte Folded Reload
	v_mov_b32_e32 v12, 4
	s_waitcnt vmcnt(0)
	v_lshlrev_b32_sdwa v12, v12, v13 dst_sel:DWORD dst_unused:UNUSED_PAD src0_sel:DWORD src1_sel:WORD_0
	ds_write_b128 v12, v[0:3] offset:160
	ds_write_b128 v12, v[8:11]
	ds_write_b128 v12, v[4:7] offset:320
.LBB0_25:
	s_or_b32 exec_lo, exec_lo, s1
	s_waitcnt lgkmcnt(0)
	s_barrier
	buffer_gl0_inv
	ds_read_b128 v[104:107], v148
	ds_read_b128 v[12:15], v148 offset:7200
	ds_read_b128 v[16:19], v148 offset:14400
	;; [unrolled: 1-line block ×24, first 2 shown]
	s_clause 0x7
	buffer_load_dword v24, off, s[24:27], 0 offset:920
	buffer_load_dword v25, off, s[24:27], 0 offset:924
	;; [unrolled: 1-line block ×8, first 2 shown]
	s_mov_b32 s14, 0x134454ff
	s_mov_b32 s15, 0xbfee6f0e
	s_mov_b32 s13, 0x3fee6f0e
	s_mov_b32 s12, s14
	s_mov_b32 s4, 0x4755a5e
	s_mov_b32 s5, 0xbfe2cf23
	s_mov_b32 s16, s4
	s_mov_b32 s2, 0x372fe950
	s_mov_b32 s3, 0x3fd3c6ef
	s_waitcnt vmcnt(4) lgkmcnt(23)
	v_mul_f64 v[20:21], v[26:27], v[14:15]
	v_fma_f64 v[22:23], v[24:25], v[12:13], v[20:21]
	v_mul_f64 v[12:13], v[26:27], v[12:13]
	v_fma_f64 v[38:39], v[24:25], v[14:15], -v[12:13]
	s_waitcnt vmcnt(0) lgkmcnt(22)
	v_mul_f64 v[12:13], v[42:43], v[18:19]
	v_fma_f64 v[26:27], v[40:41], v[16:17], v[12:13]
	v_mul_f64 v[12:13], v[42:43], v[16:17]
	s_clause 0x3
	buffer_load_dword v14, off, s[24:27], 0 offset:808
	buffer_load_dword v15, off, s[24:27], 0 offset:812
	;; [unrolled: 1-line block ×4, first 2 shown]
	v_add_f64 v[24:25], v[22:23], -v[26:27]
	v_fma_f64 v[42:43], v[40:41], v[18:19], -v[12:13]
	s_waitcnt vmcnt(0) lgkmcnt(21)
	v_mul_f64 v[12:13], v[16:17], v[30:31]
	v_fma_f64 v[48:49], v[14:15], v[28:29], v[12:13]
	v_mul_f64 v[12:13], v[16:17], v[28:29]
	v_fma_f64 v[44:45], v[14:15], v[30:31], -v[12:13]
	s_clause 0x3
	buffer_load_dword v14, off, s[24:27], 0 offset:760
	buffer_load_dword v15, off, s[24:27], 0 offset:764
	;; [unrolled: 1-line block ×4, first 2 shown]
	s_waitcnt vmcnt(0) lgkmcnt(20)
	v_mul_f64 v[12:13], v[16:17], v[34:35]
	v_fma_f64 v[50:51], v[14:15], v[32:33], v[12:13]
	v_mul_f64 v[12:13], v[16:17], v[32:33]
	v_add_f64 v[40:41], v[50:51], -v[48:49]
	v_fma_f64 v[46:47], v[14:15], v[34:35], -v[12:13]
	s_clause 0x3
	buffer_load_dword v14, off, s[24:27], 0 offset:612
	buffer_load_dword v15, off, s[24:27], 0 offset:616
	;; [unrolled: 1-line block ×4, first 2 shown]
	v_add_f64 v[40:41], v[24:25], v[40:41]
	v_add_f64 v[36:37], v[38:39], -v[46:47]
	s_waitcnt vmcnt(0) lgkmcnt(18)
	v_mul_f64 v[12:13], v[16:17], v[54:55]
	v_fma_f64 v[162:163], v[14:15], v[52:53], v[12:13]
	v_mul_f64 v[12:13], v[16:17], v[52:53]
	v_fma_f64 v[32:33], v[14:15], v[54:55], -v[12:13]
	s_clause 0x3
	buffer_load_dword v14, off, s[24:27], 0 offset:596
	buffer_load_dword v15, off, s[24:27], 0 offset:600
	buffer_load_dword v16, off, s[24:27], 0 offset:604
	buffer_load_dword v17, off, s[24:27], 0 offset:608
	s_waitcnt vmcnt(0) lgkmcnt(17)
	v_mul_f64 v[12:13], v[16:17], v[158:159]
	v_fma_f64 v[164:165], v[14:15], v[156:157], v[12:13]
	v_mul_f64 v[12:13], v[16:17], v[156:157]
	v_fma_f64 v[34:35], v[14:15], v[158:159], -v[12:13]
	s_clause 0x3
	buffer_load_dword v14, off, s[24:27], 0 offset:580
	buffer_load_dword v15, off, s[24:27], 0 offset:584
	buffer_load_dword v16, off, s[24:27], 0 offset:588
	buffer_load_dword v17, off, s[24:27], 0 offset:592
	;; [unrolled: 10-line block ×3, first 2 shown]
	s_waitcnt vmcnt(0) lgkmcnt(15)
	v_mul_f64 v[12:13], v[16:17], v[176:177]
	v_fma_f64 v[172:173], v[14:15], v[174:175], v[12:13]
	v_mul_f64 v[12:13], v[16:17], v[174:175]
	v_add_f64 v[150:151], v[168:169], -v[172:173]
	v_fma_f64 v[160:161], v[14:15], v[176:177], -v[12:13]
	s_clause 0x3
	buffer_load_dword v14, off, s[24:27], 0 offset:740
	buffer_load_dword v15, off, s[24:27], 0 offset:744
	buffer_load_dword v16, off, s[24:27], 0 offset:748
	buffer_load_dword v17, off, s[24:27], 0 offset:752
	s_waitcnt vmcnt(0) lgkmcnt(13)
	v_mul_f64 v[12:13], v[16:17], v[180:181]
	v_fma_f64 v[166:167], v[14:15], v[178:179], v[12:13]
	v_mul_f64 v[12:13], v[16:17], v[178:179]
	v_fma_f64 v[174:175], v[14:15], v[180:181], -v[12:13]
	s_clause 0x3
	buffer_load_dword v14, off, s[24:27], 0 offset:724
	buffer_load_dword v15, off, s[24:27], 0 offset:728
	buffer_load_dword v16, off, s[24:27], 0 offset:732
	buffer_load_dword v17, off, s[24:27], 0 offset:736
	s_waitcnt vmcnt(0) lgkmcnt(12)
	v_mul_f64 v[12:13], v[16:17], v[184:185]
	v_fma_f64 v[170:171], v[14:15], v[182:183], v[12:13]
	v_mul_f64 v[12:13], v[16:17], v[182:183]
	;; [unrolled: 10-line block ×4, first 2 shown]
	v_fma_f64 v[176:177], v[14:15], v[192:193], -v[12:13]
	s_clause 0x7
	buffer_load_dword v14, off, s[24:27], 0 offset:1160
	buffer_load_dword v15, off, s[24:27], 0 offset:1164
	;; [unrolled: 1-line block ×8, first 2 shown]
	s_waitcnt vmcnt(4) lgkmcnt(8)
	v_mul_f64 v[12:13], v[16:17], v[196:197]
	v_fma_f64 v[182:183], v[14:15], v[194:195], v[12:13]
	v_mul_f64 v[12:13], v[16:17], v[194:195]
	v_fma_f64 v[16:17], v[14:15], v[196:197], -v[12:13]
	s_waitcnt vmcnt(0) lgkmcnt(7)
	v_mul_f64 v[12:13], v[20:21], v[200:201]
	v_add_f64 v[14:15], v[26:27], v[48:49]
	v_fma_f64 v[186:187], v[18:19], v[198:199], v[12:13]
	v_mul_f64 v[12:13], v[20:21], v[198:199]
	v_fma_f64 v[14:15], v[14:15], -0.5, v[104:105]
	v_fma_f64 v[190:191], v[18:19], v[200:201], -v[12:13]
	s_clause 0x3
	buffer_load_dword v18, off, s[24:27], 0 offset:1176
	buffer_load_dword v19, off, s[24:27], 0 offset:1180
	;; [unrolled: 1-line block ×4, first 2 shown]
	s_waitcnt vmcnt(0) lgkmcnt(6)
	v_mul_f64 v[12:13], v[20:21], v[204:205]
	v_fma_f64 v[196:197], v[18:19], v[202:203], v[12:13]
	v_mul_f64 v[12:13], v[20:21], v[202:203]
	v_fma_f64 v[192:193], v[18:19], v[204:205], -v[12:13]
	s_clause 0x7
	buffer_load_dword v18, off, s[24:27], 0 offset:1192
	buffer_load_dword v19, off, s[24:27], 0 offset:1196
	;; [unrolled: 1-line block ×8, first 2 shown]
	s_waitcnt vmcnt(4) lgkmcnt(5)
	v_mul_f64 v[12:13], v[20:21], v[208:209]
	v_fma_f64 v[200:201], v[18:19], v[206:207], v[12:13]
	v_mul_f64 v[12:13], v[20:21], v[206:207]
	v_fma_f64 v[20:21], v[36:37], s[14:15], v[14:15]
	v_fma_f64 v[14:15], v[36:37], s[12:13], v[14:15]
	v_fma_f64 v[194:195], v[18:19], v[208:209], -v[12:13]
	s_waitcnt vmcnt(0) lgkmcnt(3)
	v_mul_f64 v[12:13], v[54:55], v[212:213]
	v_fma_f64 v[18:19], v[52:53], v[210:211], v[12:13]
	v_mul_f64 v[12:13], v[54:55], v[210:211]
	v_fma_f64 v[202:203], v[52:53], v[212:213], -v[12:13]
	s_clause 0x3
	buffer_load_dword v52, off, s[24:27], 0 offset:1268
	buffer_load_dword v53, off, s[24:27], 0 offset:1272
	buffer_load_dword v54, off, s[24:27], 0 offset:1276
	buffer_load_dword v55, off, s[24:27], 0 offset:1280
	s_waitcnt vmcnt(0) lgkmcnt(2)
	v_mul_f64 v[12:13], v[54:55], v[216:217]
	v_fma_f64 v[198:199], v[52:53], v[214:215], v[12:13]
	v_mul_f64 v[12:13], v[54:55], v[214:215]
	v_fma_f64 v[204:205], v[52:53], v[216:217], -v[12:13]
	s_clause 0x3
	buffer_load_dword v52, off, s[24:27], 0 offset:1284
	buffer_load_dword v53, off, s[24:27], 0 offset:1288
	buffer_load_dword v54, off, s[24:27], 0 offset:1292
	buffer_load_dword v55, off, s[24:27], 0 offset:1296
	;; [unrolled: 10-line block ×3, first 2 shown]
	s_waitcnt vmcnt(0) lgkmcnt(0)
	s_barrier
	buffer_gl0_inv
	v_mul_f64 v[12:13], v[54:55], v[224:225]
	v_fma_f64 v[212:213], v[52:53], v[222:223], v[12:13]
	v_mul_f64 v[12:13], v[54:55], v[222:223]
	v_add_f64 v[54:55], v[26:27], -v[22:23]
	v_fma_f64 v[208:209], v[52:53], v[224:225], -v[12:13]
	v_add_f64 v[52:53], v[42:43], -v[44:45]
	v_add_f64 v[12:13], v[104:105], v[22:23]
	v_fma_f64 v[20:21], v[52:53], s[4:5], v[20:21]
	v_fma_f64 v[14:15], v[52:53], s[16:17], v[14:15]
	v_add_f64 v[12:13], v[12:13], v[26:27]
	v_fma_f64 v[24:25], v[40:41], s[2:3], v[20:21]
	v_fma_f64 v[20:21], v[40:41], s[2:3], v[14:15]
	v_add_f64 v[14:15], v[22:23], v[50:51]
	v_add_f64 v[12:13], v[12:13], v[48:49]
	v_fma_f64 v[14:15], v[14:15], -0.5, v[104:105]
	v_add_f64 v[104:105], v[48:49], -v[50:51]
	v_add_f64 v[12:13], v[12:13], v[50:51]
	v_add_f64 v[50:51], v[22:23], -v[50:51]
	v_add_f64 v[48:49], v[26:27], -v[48:49]
	;; [unrolled: 1-line block ×3, first 2 shown]
	v_fma_f64 v[40:41], v[52:53], s[12:13], v[14:15]
	v_fma_f64 v[14:15], v[52:53], s[14:15], v[14:15]
	v_add_f64 v[52:53], v[42:43], v[44:45]
	v_add_f64 v[54:55], v[54:55], v[104:105]
	v_add_f64 v[104:105], v[172:173], -v[168:169]
	v_fma_f64 v[40:41], v[36:37], s[4:5], v[40:41]
	v_fma_f64 v[14:15], v[36:37], s[16:17], v[14:15]
	v_fma_f64 v[52:53], v[52:53], -0.5, v[106:107]
	v_fma_f64 v[40:41], v[54:55], s[2:3], v[40:41]
	v_fma_f64 v[36:37], v[54:55], s[2:3], v[14:15]
	;; [unrolled: 1-line block ×3, first 2 shown]
	v_add_f64 v[54:55], v[46:47], -v[44:45]
	v_add_f64 v[14:15], v[106:107], v[38:39]
	v_fma_f64 v[22:23], v[48:49], s[16:17], v[22:23]
	v_add_f64 v[54:55], v[26:27], v[54:55]
	v_add_f64 v[14:15], v[14:15], v[42:43]
	v_fma_f64 v[26:27], v[54:55], s[2:3], v[22:23]
	v_fma_f64 v[22:23], v[50:51], s[14:15], v[52:53]
	v_add_f64 v[52:53], v[38:39], v[46:47]
	v_add_f64 v[14:15], v[14:15], v[44:45]
	v_add_f64 v[38:39], v[42:43], -v[38:39]
	v_add_f64 v[42:43], v[44:45], -v[46:47]
	v_fma_f64 v[22:23], v[48:49], s[4:5], v[22:23]
	v_fma_f64 v[52:53], v[52:53], -0.5, v[106:107]
	v_add_f64 v[14:15], v[14:15], v[46:47]
	v_add_f64 v[46:47], v[164:165], v[168:169]
	v_add_f64 v[38:39], v[38:39], v[42:43]
	v_add_f64 v[106:107], v[164:165], -v[162:163]
	v_fma_f64 v[22:23], v[54:55], s[2:3], v[22:23]
	v_fma_f64 v[54:55], v[48:49], s[14:15], v[52:53]
	v_fma_f64 v[44:45], v[48:49], s[12:13], v[52:53]
	v_fma_f64 v[46:47], v[46:47], -0.5, v[152:153]
	v_add_f64 v[52:53], v[34:35], -v[158:159]
	v_add_f64 v[106:107], v[106:107], v[150:151]
	v_add_f64 v[150:151], v[164:165], -v[168:169]
	v_fma_f64 v[54:55], v[50:51], s[16:17], v[54:55]
	v_fma_f64 v[44:45], v[50:51], s[4:5], v[44:45]
	v_add_f64 v[50:51], v[32:33], -v[160:161]
	v_fma_f64 v[42:43], v[38:39], s[2:3], v[54:55]
	v_add_f64 v[54:55], v[162:163], -v[164:165]
	v_fma_f64 v[48:49], v[50:51], s[14:15], v[46:47]
	v_fma_f64 v[46:47], v[50:51], s[12:13], v[46:47]
	;; [unrolled: 1-line block ×3, first 2 shown]
	v_add_f64 v[44:45], v[152:153], v[162:163]
	v_add_f64 v[54:55], v[54:55], v[104:105]
	v_fma_f64 v[48:49], v[52:53], s[4:5], v[48:49]
	v_fma_f64 v[46:47], v[52:53], s[16:17], v[46:47]
	v_add_f64 v[44:45], v[44:45], v[164:165]
	v_fma_f64 v[104:105], v[54:55], s[2:3], v[48:49]
	v_fma_f64 v[48:49], v[54:55], s[2:3], v[46:47]
	v_add_f64 v[46:47], v[162:163], v[172:173]
	v_add_f64 v[44:45], v[44:45], v[168:169]
	v_fma_f64 v[46:47], v[46:47], -0.5, v[152:153]
	v_add_f64 v[44:45], v[44:45], v[172:173]
	v_fma_f64 v[54:55], v[52:53], s[12:13], v[46:47]
	v_fma_f64 v[46:47], v[52:53], s[14:15], v[46:47]
	v_add_f64 v[52:53], v[162:163], -v[172:173]
	v_add_f64 v[162:163], v[160:161], -v[158:159]
	v_fma_f64 v[54:55], v[50:51], s[4:5], v[54:55]
	v_fma_f64 v[46:47], v[50:51], s[16:17], v[46:47]
	v_add_f64 v[50:51], v[34:35], v[158:159]
	v_fma_f64 v[156:157], v[106:107], s[2:3], v[54:55]
	v_fma_f64 v[152:153], v[106:107], s[2:3], v[46:47]
	v_fma_f64 v[50:51], v[50:51], -0.5, v[154:155]
	v_add_f64 v[106:107], v[32:33], -v[34:35]
	v_add_f64 v[46:47], v[154:155], v[32:33]
	v_fma_f64 v[54:55], v[52:53], s[12:13], v[50:51]
	v_add_f64 v[162:163], v[106:107], v[162:163]
	v_add_f64 v[46:47], v[46:47], v[34:35]
	v_fma_f64 v[50:51], v[52:53], s[14:15], v[50:51]
	v_fma_f64 v[54:55], v[150:151], s[16:17], v[54:55]
	v_add_f64 v[46:47], v[46:47], v[158:159]
	v_fma_f64 v[50:51], v[150:151], s[4:5], v[50:51]
	v_fma_f64 v[106:107], v[162:163], s[2:3], v[54:55]
	v_add_f64 v[54:55], v[32:33], v[160:161]
	v_add_f64 v[32:33], v[34:35], -v[32:33]
	v_add_f64 v[34:35], v[158:159], -v[160:161]
	v_add_f64 v[46:47], v[46:47], v[160:161]
	v_fma_f64 v[50:51], v[162:163], s[2:3], v[50:51]
	v_add_f64 v[162:163], v[180:181], -v[178:179]
	v_fma_f64 v[54:55], v[54:55], -0.5, v[154:155]
	v_add_f64 v[32:33], v[32:33], v[34:35]
	v_fma_f64 v[154:155], v[150:151], s[14:15], v[54:55]
	v_fma_f64 v[34:35], v[150:151], s[12:13], v[54:55]
	v_add_f64 v[54:55], v[28:29], -v[30:31]
	v_add_f64 v[150:151], v[166:167], -v[170:171]
	v_fma_f64 v[154:155], v[52:53], s[16:17], v[154:155]
	v_fma_f64 v[34:35], v[52:53], s[4:5], v[34:35]
	v_add_f64 v[150:151], v[150:151], v[162:163]
	v_fma_f64 v[158:159], v[32:33], s[2:3], v[154:155]
	v_fma_f64 v[154:155], v[32:33], s[2:3], v[34:35]
	v_add_f64 v[32:33], v[100:101], v[166:167]
	v_add_f64 v[34:35], v[174:175], -v[176:177]
	v_add_f64 v[32:33], v[32:33], v[170:171]
	v_add_f64 v[32:33], v[32:33], v[178:179]
	;; [unrolled: 1-line block ×4, first 2 shown]
	v_fma_f64 v[32:33], v[32:33], -0.5, v[100:101]
	v_fma_f64 v[52:53], v[34:35], s[14:15], v[32:33]
	v_fma_f64 v[32:33], v[34:35], s[12:13], v[32:33]
	;; [unrolled: 1-line block ×6, first 2 shown]
	v_add_f64 v[32:33], v[166:167], v[180:181]
	v_add_f64 v[150:151], v[178:179], -v[180:181]
	v_fma_f64 v[32:33], v[32:33], -0.5, v[100:101]
	v_add_f64 v[100:101], v[170:171], -v[166:167]
	v_fma_f64 v[52:53], v[54:55], s[12:13], v[32:33]
	v_fma_f64 v[32:33], v[54:55], s[14:15], v[32:33]
	v_add_f64 v[100:101], v[100:101], v[150:151]
	v_add_f64 v[54:55], v[170:171], -v[178:179]
	v_add_f64 v[150:151], v[174:175], -v[28:29]
	v_fma_f64 v[52:53], v[34:35], s[4:5], v[52:53]
	v_fma_f64 v[32:33], v[34:35], s[16:17], v[32:33]
	v_add_f64 v[34:35], v[166:167], -v[180:181]
	v_add_f64 v[166:167], v[176:177], -v[30:31]
	v_fma_f64 v[172:173], v[100:101], s[2:3], v[52:53]
	v_fma_f64 v[100:101], v[100:101], s[2:3], v[32:33]
	v_add_f64 v[32:33], v[102:103], v[174:175]
	v_add_f64 v[150:151], v[150:151], v[166:167]
	;; [unrolled: 1-line block ×6, first 2 shown]
	v_add_f64 v[28:29], v[28:29], -v[174:175]
	v_add_f64 v[30:31], v[30:31], -v[176:177]
	v_fma_f64 v[32:33], v[32:33], -0.5, v[102:103]
	v_add_f64 v[28:29], v[28:29], v[30:31]
	v_fma_f64 v[52:53], v[34:35], s[12:13], v[32:33]
	v_fma_f64 v[32:33], v[34:35], s[14:15], v[32:33]
	v_fma_f64 v[52:53], v[54:55], s[16:17], v[52:53]
	v_fma_f64 v[32:33], v[54:55], s[4:5], v[32:33]
	v_fma_f64 v[170:171], v[150:151], s[2:3], v[52:53]
	v_fma_f64 v[166:167], v[150:151], s[2:3], v[32:33]
	v_add_f64 v[32:33], v[174:175], v[176:177]
	v_fma_f64 v[32:33], v[32:33], -0.5, v[102:103]
	v_fma_f64 v[52:53], v[54:55], s[14:15], v[32:33]
	v_fma_f64 v[30:31], v[54:55], s[12:13], v[32:33]
	v_add_f64 v[54:55], v[200:201], -v[196:197]
	v_fma_f64 v[52:53], v[34:35], s[16:17], v[52:53]
	v_fma_f64 v[30:31], v[34:35], s[4:5], v[30:31]
	v_add_f64 v[34:35], v[190:191], -v[192:193]
	v_fma_f64 v[174:175], v[28:29], s[2:3], v[52:53]
	v_fma_f64 v[102:103], v[28:29], s[2:3], v[30:31]
	v_add_f64 v[28:29], v[88:89], v[182:183]
	v_add_f64 v[30:31], v[16:17], -v[194:195]
	v_add_f64 v[52:53], v[182:183], -v[186:187]
	v_add_f64 v[28:29], v[28:29], v[186:187]
	v_add_f64 v[52:53], v[52:53], v[54:55]
	v_add_f64 v[54:55], v[196:197], -v[200:201]
	v_add_f64 v[28:29], v[28:29], v[196:197]
	v_add_f64 v[176:177], v[28:29], v[200:201]
	;; [unrolled: 1-line block ×3, first 2 shown]
	v_fma_f64 v[28:29], v[28:29], -0.5, v[88:89]
	v_fma_f64 v[32:33], v[30:31], s[14:15], v[28:29]
	v_fma_f64 v[28:29], v[30:31], s[12:13], v[28:29]
	;; [unrolled: 1-line block ×6, first 2 shown]
	v_add_f64 v[28:29], v[182:183], v[200:201]
	v_add_f64 v[52:53], v[186:187], -v[182:183]
	v_fma_f64 v[28:29], v[28:29], -0.5, v[88:89]
	v_add_f64 v[52:53], v[52:53], v[54:55]
	v_add_f64 v[54:55], v[194:195], -v[192:193]
	v_fma_f64 v[32:33], v[34:35], s[12:13], v[28:29]
	v_fma_f64 v[28:29], v[34:35], s[14:15], v[28:29]
	v_add_f64 v[34:35], v[186:187], -v[196:197]
	v_fma_f64 v[32:33], v[30:31], s[4:5], v[32:33]
	v_fma_f64 v[28:29], v[30:31], s[16:17], v[28:29]
	;; [unrolled: 3-line block ×3, first 2 shown]
	v_add_f64 v[28:29], v[90:91], v[16:17]
	v_add_f64 v[52:53], v[16:17], -v[190:191]
	v_add_f64 v[28:29], v[28:29], v[190:191]
	v_add_f64 v[52:53], v[52:53], v[54:55]
	;; [unrolled: 1-line block ×5, first 2 shown]
	v_fma_f64 v[28:29], v[28:29], -0.5, v[90:91]
	v_fma_f64 v[32:33], v[30:31], s[12:13], v[28:29]
	v_fma_f64 v[28:29], v[30:31], s[14:15], v[28:29]
	;; [unrolled: 1-line block ×6, first 2 shown]
	v_add_f64 v[28:29], v[16:17], v[194:195]
	v_add_f64 v[16:17], v[190:191], -v[16:17]
	v_add_f64 v[52:53], v[192:193], -v[194:195]
	v_fma_f64 v[28:29], v[28:29], -0.5, v[90:91]
	v_add_f64 v[16:17], v[16:17], v[52:53]
	v_add_f64 v[52:53], v[212:213], -v[210:211]
	v_fma_f64 v[32:33], v[34:35], s[14:15], v[28:29]
	v_fma_f64 v[28:29], v[34:35], s[12:13], v[28:29]
	v_add_f64 v[34:35], v[18:19], -v[198:199]
	v_fma_f64 v[32:33], v[30:31], s[16:17], v[32:33]
	v_fma_f64 v[28:29], v[30:31], s[4:5], v[28:29]
	v_add_f64 v[34:35], v[34:35], v[52:53]
	v_add_f64 v[52:53], v[210:211], -v[212:213]
	v_fma_f64 v[190:191], v[16:17], s[2:3], v[32:33]
	v_fma_f64 v[90:91], v[16:17], s[2:3], v[28:29]
	v_add_f64 v[16:17], v[8:9], v[18:19]
	v_add_f64 v[28:29], v[202:203], -v[208:209]
	v_add_f64 v[32:33], v[204:205], -v[206:207]
	v_add_f64 v[16:17], v[16:17], v[198:199]
	v_add_f64 v[16:17], v[16:17], v[210:211]
	v_add_f64 v[192:193], v[16:17], v[212:213]
	v_add_f64 v[16:17], v[198:199], v[210:211]
	v_fma_f64 v[16:17], v[16:17], -0.5, v[8:9]
	v_fma_f64 v[30:31], v[28:29], s[14:15], v[16:17]
	v_fma_f64 v[16:17], v[28:29], s[12:13], v[16:17]
	;; [unrolled: 1-line block ×5, first 2 shown]
	v_add_f64 v[30:31], v[18:19], v[212:213]
	v_fma_f64 v[16:17], v[34:35], s[2:3], v[16:17]
	v_add_f64 v[34:35], v[198:199], -v[18:19]
	v_fma_f64 v[8:9], v[30:31], -0.5, v[8:9]
	v_add_f64 v[34:35], v[34:35], v[52:53]
	v_add_f64 v[52:53], v[208:209], -v[206:207]
	v_fma_f64 v[30:31], v[32:33], s[12:13], v[8:9]
	v_fma_f64 v[8:9], v[32:33], s[14:15], v[8:9]
	v_add_f64 v[32:33], v[198:199], -v[210:211]
	v_fma_f64 v[30:31], v[28:29], s[4:5], v[30:31]
	v_fma_f64 v[8:9], v[28:29], s[16:17], v[8:9]
	v_add_f64 v[28:29], v[10:11], v[202:203]
	v_fma_f64 v[200:201], v[34:35], s[2:3], v[30:31]
	v_add_f64 v[30:31], v[18:19], -v[212:213]
	v_add_f64 v[28:29], v[28:29], v[204:205]
	v_fma_f64 v[8:9], v[34:35], s[2:3], v[8:9]
	v_add_f64 v[34:35], v[202:203], -v[204:205]
	v_add_f64 v[28:29], v[28:29], v[206:207]
	v_add_f64 v[34:35], v[34:35], v[52:53]
	v_add_f64 v[52:53], v[206:207], -v[208:209]
	v_add_f64 v[194:195], v[28:29], v[208:209]
	v_add_f64 v[28:29], v[204:205], v[206:207]
	v_fma_f64 v[28:29], v[28:29], -0.5, v[10:11]
	v_fma_f64 v[18:19], v[30:31], s[12:13], v[28:29]
	v_fma_f64 v[18:19], v[32:33], s[16:17], v[18:19]
	;; [unrolled: 1-line block ×4, first 2 shown]
	v_add_f64 v[28:29], v[202:203], v[208:209]
	v_fma_f64 v[18:19], v[32:33], s[4:5], v[18:19]
	v_fma_f64 v[10:11], v[28:29], -0.5, v[10:11]
	v_fma_f64 v[18:19], v[34:35], s[2:3], v[18:19]
	v_fma_f64 v[28:29], v[32:33], s[14:15], v[10:11]
	v_add_f64 v[34:35], v[204:205], -v[202:203]
	v_fma_f64 v[10:11], v[32:33], s[12:13], v[10:11]
	v_fma_f64 v[28:29], v[30:31], s[16:17], v[28:29]
	v_add_f64 v[34:35], v[34:35], v[52:53]
	v_fma_f64 v[10:11], v[30:31], s[4:5], v[10:11]
	v_fma_f64 v[202:203], v[34:35], s[2:3], v[28:29]
	buffer_load_dword v28, off, s[24:27], 0 offset:400 ; 4-byte Folded Reload
	v_fma_f64 v[10:11], v[34:35], s[2:3], v[10:11]
	s_waitcnt vmcnt(0)
	ds_write_b128 v28, v[12:15]
	ds_write_b128 v28, v[24:27] offset:480
	ds_write_b128 v28, v[40:43] offset:960
	ds_write_b128 v28, v[36:39] offset:1440
	ds_write_b128 v28, v[20:23] offset:1920
	buffer_load_dword v12, off, s[24:27], 0 offset:488 ; 4-byte Folded Reload
	s_waitcnt vmcnt(0)
	ds_write_b128 v12, v[44:47]
	ds_write_b128 v12, v[104:107] offset:480
	ds_write_b128 v12, v[156:159] offset:960
	ds_write_b128 v12, v[152:155] offset:1440
	ds_write_b128 v12, v[48:51] offset:1920
	buffer_load_dword v12, off, s[24:27], 0 offset:484 ; 4-byte Folded Reload
	;; [unrolled: 7-line block ×4, first 2 shown]
	s_waitcnt vmcnt(0)
	ds_write_b128 v12, v[192:195]
	ds_write_b128 v12, v[196:199] offset:480
	ds_write_b128 v12, v[200:203] offset:960
	;; [unrolled: 1-line block ×4, first 2 shown]
	s_waitcnt lgkmcnt(0)
	s_barrier
	buffer_gl0_inv
	ds_read_b128 v[40:43], v148
	ds_read_b128 v[200:203], v148 offset:12000
	ds_read_b128 v[196:199], v148 offset:24000
	;; [unrolled: 1-line block ×23, first 2 shown]
	s_and_saveexec_b32 s1, s0
	s_cbranch_execz .LBB0_27
; %bb.26:
	ds_read_b128 v[0:3], v148 offset:23520
	ds_read_b128 v[16:19], v148 offset:11520
	;; [unrolled: 1-line block ×3, first 2 shown]
.LBB0_27:
	s_or_b32 exec_lo, exec_lo, s1
	s_clause 0x3
	buffer_load_dword v30, off, s[24:27], 0 offset:548
	buffer_load_dword v31, off, s[24:27], 0 offset:552
	;; [unrolled: 1-line block ×4, first 2 shown]
	s_mov_b32 s2, 0xe8584caa
	s_mov_b32 s3, 0xbfebb67a
	;; [unrolled: 1-line block ×4, first 2 shown]
	s_waitcnt vmcnt(0) lgkmcnt(22)
	v_mul_f64 v[28:29], v[32:33], v[202:203]
	v_fma_f64 v[34:35], v[30:31], v[200:201], v[28:29]
	v_mul_f64 v[28:29], v[32:33], v[200:201]
	v_fma_f64 v[52:53], v[30:31], v[202:203], -v[28:29]
	s_clause 0x3
	buffer_load_dword v30, off, s[24:27], 0 offset:532
	buffer_load_dword v31, off, s[24:27], 0 offset:536
	buffer_load_dword v32, off, s[24:27], 0 offset:540
	buffer_load_dword v33, off, s[24:27], 0 offset:544
	s_waitcnt vmcnt(0) lgkmcnt(21)
	v_mul_f64 v[28:29], v[32:33], v[198:199]
	v_fma_f64 v[54:55], v[30:31], v[196:197], v[28:29]
	v_mul_f64 v[28:29], v[32:33], v[196:197]
	v_fma_f64 v[150:151], v[30:31], v[198:199], -v[28:29]
	s_clause 0x3
	buffer_load_dword v30, off, s[24:27], 0 offset:644
	buffer_load_dword v31, off, s[24:27], 0 offset:648
	buffer_load_dword v32, off, s[24:27], 0 offset:652
	buffer_load_dword v33, off, s[24:27], 0 offset:656
	;; [unrolled: 10-line block ×13, first 2 shown]
	s_waitcnt vmcnt(0) lgkmcnt(3)
	v_mul_f64 v[28:29], v[32:33], v[106:107]
	v_fma_f64 v[168:169], v[30:31], v[104:105], v[28:29]
	v_mul_f64 v[28:29], v[32:33], v[104:105]
	v_add_f64 v[104:105], v[200:201], -v[204:205]
	v_fma_f64 v[170:171], v[30:31], v[106:107], -v[28:29]
	s_clause 0x3
	buffer_load_dword v30, off, s[24:27], 0 offset:1320
	buffer_load_dword v31, off, s[24:27], 0 offset:1324
	;; [unrolled: 1-line block ×4, first 2 shown]
	s_waitcnt lgkmcnt(1)
	v_mul_f64 v[28:29], v[58:59], v[102:103]
	s_waitcnt vmcnt(0) lgkmcnt(0)
	s_barrier
	buffer_gl0_inv
	v_add_f64 v[106:107], v[188:189], v[190:191]
	v_fma_f64 v[156:157], v[56:57], v[100:101], v[28:29]
	v_mul_f64 v[28:29], v[58:59], v[100:101]
	v_fma_f64 v[160:161], v[56:57], v[102:103], -v[28:29]
	v_add_f64 v[102:103], v[202:203], v[206:207]
	v_mul_f64 v[28:29], v[32:33], v[46:47]
	v_fma_f64 v[158:159], v[30:31], v[44:45], v[28:29]
	v_mul_f64 v[28:29], v[32:33], v[44:45]
	v_add_f64 v[44:45], v[52:53], v[150:151]
	v_fma_f64 v[162:163], v[30:31], v[46:47], -v[28:29]
	v_add_f64 v[30:31], v[34:35], v[54:55]
	v_add_f64 v[28:29], v[40:41], v[34:35]
	;; [unrolled: 1-line block ×3, first 2 shown]
	v_fma_f64 v[30:31], v[30:31], -0.5, v[40:41]
	v_add_f64 v[40:41], v[52:53], -v[150:151]
	v_add_f64 v[28:29], v[28:29], v[54:55]
	v_fma_f64 v[46:47], v[46:47], -0.5, v[88:89]
	v_fma_f64 v[32:33], v[40:41], s[2:3], v[30:31]
	v_fma_f64 v[40:41], v[40:41], s[4:5], v[30:31]
	v_add_f64 v[30:31], v[42:43], v[52:53]
	v_fma_f64 v[42:43], v[44:45], -0.5, v[42:43]
	v_add_f64 v[44:45], v[34:35], -v[54:55]
	v_add_f64 v[52:53], v[192:193], -v[198:199]
	v_add_f64 v[54:55], v[192:193], v[198:199]
	v_add_f64 v[30:31], v[30:31], v[150:151]
	;; [unrolled: 1-line block ×3, first 2 shown]
	v_fma_f64 v[34:35], v[44:45], s[4:5], v[42:43]
	v_fma_f64 v[42:43], v[44:45], s[2:3], v[42:43]
	ds_write_b128 v148, v[28:31]
	ds_write_b128 v148, v[32:35] offset:2400
	ds_write_b128 v148, v[40:43] offset:4800
	buffer_load_dword v28, off, s[24:27], 0 offset:756 ; 4-byte Folded Reload
	v_add_f64 v[44:45], v[88:89], v[196:197]
	v_fma_f64 v[56:57], v[52:53], s[2:3], v[46:47]
	v_fma_f64 v[52:53], v[52:53], s[4:5], v[46:47]
	v_add_f64 v[46:47], v[90:91], v[192:193]
	v_fma_f64 v[54:55], v[54:55], -0.5, v[90:91]
	v_add_f64 v[88:89], v[196:197], -v[194:195]
	v_add_f64 v[90:91], v[200:201], v[204:205]
	v_add_f64 v[44:45], v[44:45], v[194:195]
	;; [unrolled: 1-line block ×3, first 2 shown]
	v_fma_f64 v[58:59], v[88:89], s[4:5], v[54:55]
	v_fma_f64 v[54:55], v[88:89], s[2:3], v[54:55]
	v_add_f64 v[88:89], v[48:49], v[200:201]
	v_fma_f64 v[48:49], v[90:91], -0.5, v[48:49]
	v_add_f64 v[90:91], v[202:203], -v[206:207]
	v_add_f64 v[88:89], v[88:89], v[204:205]
	v_fma_f64 v[100:101], v[90:91], s[2:3], v[48:49]
	v_fma_f64 v[48:49], v[90:91], s[4:5], v[48:49]
	v_add_f64 v[90:91], v[50:51], v[202:203]
	v_fma_f64 v[50:51], v[102:103], -0.5, v[50:51]
	v_add_f64 v[90:91], v[90:91], v[206:207]
	v_fma_f64 v[102:103], v[104:105], s[4:5], v[50:51]
	v_fma_f64 v[50:51], v[104:105], s[2:3], v[50:51]
	v_add_f64 v[104:105], v[36:37], v[188:189]
	v_fma_f64 v[36:37], v[106:107], -0.5, v[36:37]
	v_add_f64 v[106:107], v[208:209], -v[210:211]
	s_waitcnt vmcnt(0)
	ds_write_b128 v28, v[44:47]
	ds_write_b128 v28, v[56:59] offset:2400
	ds_write_b128 v28, v[52:55] offset:4800
	;; [unrolled: 1-line block ×5, first 2 shown]
	buffer_load_dword v28, off, s[24:27], 0 offset:1248 ; 4-byte Folded Reload
	v_fma_f64 v[152:153], v[106:107], s[2:3], v[36:37]
	v_fma_f64 v[36:37], v[106:107], s[4:5], v[36:37]
	v_add_f64 v[106:107], v[38:39], v[208:209]
	v_fma_f64 v[38:39], v[150:151], -0.5, v[38:39]
	v_add_f64 v[150:151], v[188:189], -v[190:191]
	v_add_f64 v[104:105], v[104:105], v[190:191]
	v_add_f64 v[190:191], v[182:183], -v[186:187]
	v_add_f64 v[106:107], v[106:107], v[210:211]
	v_fma_f64 v[154:155], v[150:151], s[4:5], v[38:39]
	v_fma_f64 v[38:39], v[150:151], s[2:3], v[38:39]
	v_add_f64 v[150:151], v[24:25], v[180:181]
	s_waitcnt vmcnt(0)
	ds_write_b128 v28, v[104:107]
	ds_write_b128 v28, v[152:155] offset:2400
	ds_write_b128 v28, v[36:39] offset:4800
	buffer_load_dword v28, off, s[24:27], 0 offset:1244 ; 4-byte Folded Reload
	v_add_f64 v[188:189], v[150:151], v[184:185]
	v_add_f64 v[150:151], v[180:181], v[184:185]
	v_add_f64 v[180:181], v[180:181], -v[184:185]
	v_fma_f64 v[150:151], v[150:151], -0.5, v[24:25]
	v_fma_f64 v[24:25], v[190:191], s[2:3], v[150:151]
	v_fma_f64 v[192:193], v[190:191], s[4:5], v[150:151]
	v_add_f64 v[150:151], v[26:27], v[182:183]
	v_add_f64 v[190:191], v[150:151], v[186:187]
	;; [unrolled: 1-line block ×3, first 2 shown]
	v_add_f64 v[182:183], v[174:175], -v[178:179]
	v_fma_f64 v[150:151], v[150:151], -0.5, v[26:27]
	v_fma_f64 v[26:27], v[180:181], s[4:5], v[150:151]
	v_fma_f64 v[194:195], v[180:181], s[2:3], v[150:151]
	v_add_f64 v[150:151], v[20:21], v[172:173]
	s_waitcnt vmcnt(0)
	ds_write_b128 v28, v[188:191] offset:14400
	ds_write_b128 v28, v[24:27] offset:16800
	;; [unrolled: 1-line block ×3, first 2 shown]
	buffer_load_dword v24, off, s[24:27], 0 offset:1224 ; 4-byte Folded Reload
	v_add_f64 v[180:181], v[150:151], v[176:177]
	v_add_f64 v[150:151], v[172:173], v[176:177]
	v_add_f64 v[172:173], v[172:173], -v[176:177]
	v_fma_f64 v[150:151], v[150:151], -0.5, v[20:21]
	v_fma_f64 v[20:21], v[182:183], s[2:3], v[150:151]
	v_fma_f64 v[184:185], v[182:183], s[4:5], v[150:151]
	v_add_f64 v[150:151], v[22:23], v[174:175]
	v_add_f64 v[182:183], v[150:151], v[178:179]
	;; [unrolled: 1-line block ×3, first 2 shown]
	v_add_f64 v[174:175], v[166:167], -v[170:171]
	v_fma_f64 v[150:151], v[150:151], -0.5, v[22:23]
	v_fma_f64 v[22:23], v[172:173], s[4:5], v[150:151]
	v_fma_f64 v[186:187], v[172:173], s[2:3], v[150:151]
	v_add_f64 v[150:151], v[12:13], v[164:165]
	s_waitcnt vmcnt(0)
	ds_write_b128 v24, v[180:183] offset:21600
	ds_write_b128 v24, v[20:23] offset:24000
	;; [unrolled: 1-line block ×3, first 2 shown]
	buffer_load_dword v20, off, s[24:27], 0 offset:1316 ; 4-byte Folded Reload
	v_add_f64 v[172:173], v[150:151], v[168:169]
	v_add_f64 v[150:151], v[164:165], v[168:169]
	v_add_f64 v[164:165], v[164:165], -v[168:169]
	v_fma_f64 v[150:151], v[150:151], -0.5, v[12:13]
	v_fma_f64 v[12:13], v[174:175], s[2:3], v[150:151]
	v_fma_f64 v[176:177], v[174:175], s[4:5], v[150:151]
	v_add_f64 v[150:151], v[14:15], v[166:167]
	v_add_f64 v[174:175], v[150:151], v[170:171]
	;; [unrolled: 1-line block ×3, first 2 shown]
	v_add_f64 v[166:167], v[160:161], -v[162:163]
	v_fma_f64 v[150:151], v[150:151], -0.5, v[14:15]
	v_fma_f64 v[14:15], v[164:165], s[4:5], v[150:151]
	v_fma_f64 v[178:179], v[164:165], s[2:3], v[150:151]
	v_add_f64 v[150:151], v[8:9], v[156:157]
	s_waitcnt vmcnt(0)
	ds_write_b128 v20, v[172:175]
	ds_write_b128 v20, v[12:15] offset:2400
	ds_write_b128 v20, v[176:179] offset:4800
	buffer_load_dword v12, off, s[24:27], 0 offset:1336 ; 4-byte Folded Reload
	v_add_f64 v[164:165], v[150:151], v[158:159]
	v_add_f64 v[150:151], v[156:157], v[158:159]
	v_add_f64 v[156:157], v[156:157], -v[158:159]
	v_fma_f64 v[150:151], v[150:151], -0.5, v[8:9]
	v_fma_f64 v[8:9], v[166:167], s[2:3], v[150:151]
	v_fma_f64 v[168:169], v[166:167], s[4:5], v[150:151]
	v_add_f64 v[150:151], v[10:11], v[160:161]
	v_add_f64 v[166:167], v[150:151], v[162:163]
	v_add_f64 v[150:151], v[160:161], v[162:163]
	v_fma_f64 v[150:151], v[150:151], -0.5, v[10:11]
	v_fma_f64 v[10:11], v[156:157], s[4:5], v[150:151]
	v_fma_f64 v[170:171], v[156:157], s[2:3], v[150:151]
	s_waitcnt vmcnt(0)
	ds_write_b128 v12, v[164:167] offset:28800
	ds_write_b128 v12, v[8:11] offset:31200
	;; [unrolled: 1-line block ×3, first 2 shown]
	s_and_saveexec_b32 s1, s0
	s_cbranch_execz .LBB0_29
; %bb.28:
	s_clause 0x7
	buffer_load_dword v20, off, s[24:27], 0 offset:1360
	buffer_load_dword v21, off, s[24:27], 0 offset:1364
	;; [unrolled: 1-line block ×8, first 2 shown]
	s_waitcnt vmcnt(4)
	v_mul_f64 v[8:9], v[22:23], v[0:1]
	s_waitcnt vmcnt(0)
	v_mul_f64 v[10:11], v[26:27], v[4:5]
	v_mul_f64 v[12:13], v[22:23], v[2:3]
	;; [unrolled: 1-line block ×3, first 2 shown]
	v_fma_f64 v[2:3], v[20:21], v[2:3], -v[8:9]
	v_fma_f64 v[6:7], v[24:25], v[6:7], -v[10:11]
	v_fma_f64 v[0:1], v[20:21], v[0:1], v[12:13]
	v_fma_f64 v[4:5], v[24:25], v[4:5], v[14:15]
	v_add_f64 v[14:15], v[18:19], v[2:3]
	v_add_f64 v[8:9], v[2:3], v[6:7]
	;; [unrolled: 1-line block ×3, first 2 shown]
	v_add_f64 v[12:13], v[0:1], -v[4:5]
	v_add_f64 v[0:1], v[16:17], v[0:1]
	v_fma_f64 v[8:9], v[8:9], -0.5, v[18:19]
	v_add_f64 v[18:19], v[2:3], -v[6:7]
	v_fma_f64 v[16:17], v[10:11], -0.5, v[16:17]
	v_add_f64 v[2:3], v[14:15], v[6:7]
	v_add_f64 v[0:1], v[0:1], v[4:5]
	v_fma_f64 v[6:7], v[12:13], s[2:3], v[8:9]
	v_fma_f64 v[10:11], v[12:13], s[4:5], v[8:9]
	buffer_load_dword v13, off, s[24:27], 0 offset:468 ; 4-byte Folded Reload
	v_fma_f64 v[8:9], v[18:19], s[2:3], v[16:17]
	v_fma_f64 v[4:5], v[18:19], s[4:5], v[16:17]
	v_mov_b32_e32 v12, 4
	s_waitcnt vmcnt(0)
	v_lshlrev_b32_sdwa v12, v12, v13 dst_sel:DWORD dst_unused:UNUSED_PAD src0_sel:DWORD src1_sel:WORD_0
	ds_write_b128 v12, v[0:3] offset:28800
	ds_write_b128 v12, v[8:11] offset:31200
	;; [unrolled: 1-line block ×3, first 2 shown]
.LBB0_29:
	s_or_b32 exec_lo, exec_lo, s1
	s_waitcnt lgkmcnt(0)
	s_barrier
	buffer_gl0_inv
	ds_read_b128 v[4:7], v148 offset:7200
	ds_read_b128 v[8:11], v148 offset:14400
	;; [unrolled: 1-line block ×10, first 2 shown]
	ds_read_b128 v[44:47], v148
	ds_read_b128 v[48:51], v148 offset:1440
	ds_read_b128 v[36:39], v148 offset:10080
	;; [unrolled: 1-line block ×4, first 2 shown]
	s_clause 0x3
	buffer_load_dword v156, off, s[24:27], 0 offset:1340
	buffer_load_dword v157, off, s[24:27], 0 offset:1344
	;; [unrolled: 1-line block ×4, first 2 shown]
	s_mov_b32 s4, 0x134454ff
	s_mov_b32 s5, 0xbfee6f0e
	;; [unrolled: 1-line block ×8, first 2 shown]
	s_waitcnt lgkmcnt(14)
	v_mul_f64 v[88:89], v[82:83], v[6:7]
	v_mul_f64 v[82:83], v[82:83], v[4:5]
	s_waitcnt lgkmcnt(13)
	v_mul_f64 v[90:91], v[74:75], v[10:11]
	v_mul_f64 v[74:75], v[74:75], v[8:9]
	;; [unrolled: 3-line block ×6, first 2 shown]
	s_mov_b32 s15, 0x3fd3c6ef
	v_fma_f64 v[88:89], v[80:81], v[4:5], v[88:89]
	v_fma_f64 v[82:83], v[80:81], v[6:7], -v[82:83]
	v_fma_f64 v[90:91], v[72:73], v[8:9], v[90:91]
	v_fma_f64 v[150:151], v[72:73], v[10:11], -v[74:75]
	v_mul_f64 v[72:73], v[118:119], v[30:31]
	ds_read_b128 v[4:7], v148 offset:31680
	v_mul_f64 v[74:75], v[118:119], v[28:29]
	v_mul_f64 v[118:119], v[114:115], v[34:35]
	v_fma_f64 v[100:101], v[92:93], v[12:13], v[100:101]
	v_fma_f64 v[92:93], v[92:93], v[14:15], -v[94:95]
	v_mul_f64 v[94:95], v[114:115], v[32:33]
	v_fma_f64 v[102:103], v[68:69], v[16:17], v[102:103]
	v_fma_f64 v[114:115], v[68:69], v[18:19], -v[70:71]
	v_mul_f64 v[16:17], v[110:111], v[38:39]
	v_mul_f64 v[18:19], v[110:111], v[36:37]
	v_fma_f64 v[104:105], v[64:65], v[20:21], v[104:105]
	v_fma_f64 v[110:111], v[64:65], v[22:23], -v[66:67]
	ds_read_b128 v[20:23], v148 offset:25920
	ds_read_b128 v[8:11], v148 offset:18720
	ds_read_b128 v[64:67], v148 offset:12960
	ds_read_b128 v[12:15], v148 offset:11520
	v_fma_f64 v[86:87], v[84:85], v[54:55], -v[86:87]
	v_fma_f64 v[160:161], v[116:117], v[28:29], v[72:73]
	s_waitcnt lgkmcnt(4)
	v_mul_f64 v[28:29], v[78:79], v[4:5]
	v_fma_f64 v[116:117], v[116:117], v[30:31], -v[74:75]
	v_fma_f64 v[118:119], v[112:113], v[32:33], v[118:119]
	v_fma_f64 v[94:95], v[112:113], v[34:35], -v[94:95]
	v_add_f64 v[34:35], v[90:91], v[100:101]
	v_fma_f64 v[112:113], v[108:109], v[36:37], v[16:17]
	v_fma_f64 v[38:39], v[108:109], v[38:39], -v[18:19]
	v_fma_f64 v[108:109], v[84:85], v[52:53], v[152:153]
	s_waitcnt lgkmcnt(2)
	v_mul_f64 v[32:33], v[130:131], v[10:11]
	v_mul_f64 v[36:37], v[130:131], v[8:9]
	;; [unrolled: 1-line block ×5, first 2 shown]
	v_add_f64 v[152:153], v[82:83], -v[114:115]
	v_fma_f64 v[130:131], v[76:77], v[6:7], -v[28:29]
	v_add_f64 v[28:29], v[88:89], v[102:103]
	v_fma_f64 v[32:33], v[128:129], v[8:9], v[32:33]
	s_waitcnt vmcnt(0)
	v_mul_f64 v[80:81], v[158:159], v[26:27]
	v_mul_f64 v[106:107], v[158:159], v[24:25]
	;; [unrolled: 1-line block ×3, first 2 shown]
	v_fma_f64 v[154:155], v[156:157], v[24:25], v[80:81]
	v_fma_f64 v[106:107], v[156:157], v[26:27], -v[106:107]
	ds_read_b128 v[24:27], v148 offset:33120
	v_mul_f64 v[156:157], v[98:99], v[58:59]
	v_mul_f64 v[98:99], v[98:99], v[56:57]
	s_waitcnt lgkmcnt(1)
	v_mul_f64 v[30:31], v[122:123], v[14:15]
	v_mul_f64 v[18:19], v[122:123], v[12:13]
	ds_read_b128 v[68:71], v148 offset:2880
	ds_read_b128 v[72:75], v148 offset:27360
	;; [unrolled: 1-line block ×3, first 2 shown]
	v_mul_f64 v[122:123], v[138:139], v[66:67]
	v_fma_f64 v[84:85], v[96:97], v[56:57], v[156:157]
	v_fma_f64 v[96:97], v[96:97], v[58:59], -v[98:99]
	s_waitcnt lgkmcnt(3)
	v_mul_f64 v[56:57], v[126:127], v[26:27]
	v_mul_f64 v[58:59], v[126:127], v[24:25]
	;; [unrolled: 1-line block ×3, first 2 shown]
	v_fma_f64 v[98:99], v[76:77], v[4:5], v[158:159]
	ds_read_b128 v[4:7], v148 offset:4320
	v_fma_f64 v[16:17], v[120:121], v[12:13], v[30:31]
	v_mul_f64 v[76:77], v[146:147], v[42:43]
	s_waitcnt lgkmcnt(2)
	v_mul_f64 v[138:139], v[62:63], v[74:75]
	v_mul_f64 v[62:63], v[62:63], v[72:73]
	v_fma_f64 v[14:15], v[120:121], v[14:15], -v[18:19]
	v_add_f64 v[120:121], v[44:45], v[88:89]
	v_fma_f64 v[146:147], v[34:35], -0.5, v[44:45]
	v_fma_f64 v[18:19], v[128:129], v[10:11], -v[36:37]
	v_fma_f64 v[34:35], v[132:133], v[20:21], v[52:53]
	s_waitcnt lgkmcnt(1)
	v_mul_f64 v[52:53], v[142:143], v[80:81]
	v_mul_f64 v[128:129], v[142:143], v[78:79]
	v_fma_f64 v[12:13], v[132:133], v[22:23], -v[54:55]
	v_add_f64 v[54:55], v[150:151], v[92:93]
	v_fma_f64 v[44:45], v[28:29], -0.5, v[44:45]
	v_fma_f64 v[30:31], v[136:137], v[64:65], v[122:123]
	v_fma_f64 v[36:37], v[144:145], v[42:43], -v[134:135]
	v_add_f64 v[42:43], v[154:155], v[160:161]
	v_fma_f64 v[10:11], v[124:125], v[24:25], v[56:57]
	v_fma_f64 v[8:9], v[124:125], v[26:27], -v[58:59]
	v_add_f64 v[56:57], v[82:83], v[114:115]
	v_add_f64 v[58:59], v[150:151], -v[92:93]
	v_fma_f64 v[22:23], v[136:137], v[66:67], -v[126:127]
	v_add_f64 v[64:65], v[88:89], -v[90:91]
	v_add_f64 v[66:67], v[102:103], -v[100:101]
	v_fma_f64 v[40:41], v[144:145], v[40:41], v[76:77]
	v_fma_f64 v[26:27], v[60:61], v[72:73], v[138:139]
	v_fma_f64 v[20:21], v[60:61], v[74:75], -v[62:63]
	v_add_f64 v[60:61], v[120:121], v[90:91]
	v_fma_f64 v[62:63], v[152:153], s[4:5], v[146:147]
	v_add_f64 v[72:73], v[88:89], -v[102:103]
	v_add_f64 v[74:75], v[90:91], -v[100:101]
	v_fma_f64 v[28:29], v[140:141], v[78:79], v[52:53]
	v_fma_f64 v[24:25], v[140:141], v[80:81], -v[128:129]
	v_add_f64 v[52:53], v[46:47], v[82:83]
	v_fma_f64 v[54:55], v[54:55], -0.5, v[46:47]
	v_add_f64 v[78:79], v[90:91], -v[88:89]
	v_add_f64 v[80:81], v[100:101], -v[102:103]
	v_add_f64 v[88:89], v[48:49], v[104:105]
	v_fma_f64 v[42:43], v[42:43], -0.5, v[48:49]
	v_add_f64 v[90:91], v[110:111], -v[94:95]
	v_add_f64 v[120:121], v[82:83], -v[150:151]
	v_fma_f64 v[46:47], v[56:57], -0.5, v[46:47]
	v_fma_f64 v[56:57], v[152:153], s[12:13], v[146:147]
	v_fma_f64 v[76:77], v[58:59], s[12:13], v[44:45]
	;; [unrolled: 1-line block ×3, first 2 shown]
	v_add_f64 v[64:65], v[64:65], v[66:67]
	v_add_f64 v[66:67], v[104:105], v[118:119]
	v_add_f64 v[122:123], v[114:115], -v[92:93]
	v_add_f64 v[82:83], v[150:151], -v[82:83]
	v_add_f64 v[60:61], v[60:61], v[100:101]
	v_fma_f64 v[62:63], v[58:59], s[0:1], v[62:63]
	v_add_f64 v[126:127], v[92:93], -v[114:115]
	v_add_f64 v[128:129], v[104:105], -v[154:155]
	v_add_f64 v[132:133], v[118:119], -v[160:161]
	v_add_f64 v[136:137], v[38:39], v[130:131]
	v_add_f64 v[52:53], v[52:53], v[150:151]
	v_fma_f64 v[100:101], v[72:73], s[12:13], v[54:55]
	v_fma_f64 v[54:55], v[72:73], s[4:5], v[54:55]
	v_add_f64 v[140:141], v[84:85], -v[98:99]
	v_add_f64 v[142:143], v[38:39], -v[86:87]
	;; [unrolled: 1-line block ×3, first 2 shown]
	v_fma_f64 v[134:135], v[90:91], s[12:13], v[42:43]
	v_add_f64 v[146:147], v[30:31], -v[40:41]
	v_fma_f64 v[124:125], v[74:75], s[4:5], v[46:47]
	v_fma_f64 v[46:47], v[74:75], s[12:13], v[46:47]
	;; [unrolled: 1-line block ×4, first 2 shown]
	v_add_f64 v[76:77], v[78:79], v[80:81]
	v_fma_f64 v[44:45], v[152:153], s[2:3], v[44:45]
	v_add_f64 v[78:79], v[88:89], v[154:155]
	v_fma_f64 v[80:81], v[90:91], s[4:5], v[42:43]
	v_add_f64 v[88:89], v[106:107], -v[116:117]
	v_fma_f64 v[66:67], v[66:67], -0.5, v[48:49]
	v_add_f64 v[48:49], v[106:107], v[116:117]
	v_add_f64 v[120:121], v[120:121], v[122:123]
	;; [unrolled: 1-line block ×5, first 2 shown]
	v_fma_f64 v[100:101], v[74:75], s[2:3], v[100:101]
	v_fma_f64 v[54:55], v[74:75], s[0:1], v[54:55]
	v_add_f64 v[74:75], v[110:111], v[94:95]
	v_add_f64 v[102:103], v[128:129], v[132:133]
	;; [unrolled: 1-line block ×3, first 2 shown]
	v_add_f64 v[150:151], v[28:29], -v[26:27]
	v_add_f64 v[158:159], v[22:23], -v[36:37]
	v_fma_f64 v[122:123], v[72:73], s[2:3], v[124:125]
	v_fma_f64 v[72:73], v[72:73], s[0:1], v[46:47]
	;; [unrolled: 1-line block ×5, first 2 shown]
	v_add_f64 v[64:65], v[50:51], v[110:111]
	v_fma_f64 v[60:61], v[76:77], s[14:15], v[44:45]
	v_add_f64 v[76:77], v[108:109], v[84:85]
	v_add_f64 v[78:79], v[78:79], v[160:161]
	v_fma_f64 v[80:81], v[88:89], s[0:1], v[80:81]
	v_fma_f64 v[124:125], v[88:89], s[2:3], v[134:135]
	v_fma_f64 v[132:133], v[48:49], -0.5, v[50:51]
	v_add_f64 v[134:135], v[104:105], -v[118:119]
	v_fma_f64 v[128:129], v[88:89], s[12:13], v[66:67]
	v_add_f64 v[44:45], v[92:93], v[114:115]
	v_fma_f64 v[48:49], v[120:121], s[14:15], v[100:101]
	v_add_f64 v[92:93], v[154:155], -v[160:161]
	v_fma_f64 v[50:51], v[74:75], -0.5, v[50:51]
	v_add_f64 v[74:75], v[86:87], v[96:97]
	v_add_f64 v[100:101], v[160:161], -v[118:119]
	v_fma_f64 v[66:67], v[88:89], s[4:5], v[66:67]
	v_add_f64 v[114:115], v[38:39], -v[130:131]
	v_fma_f64 v[58:59], v[82:83], s[14:15], v[122:123]
	v_fma_f64 v[62:63], v[82:83], s[14:15], v[72:73]
	v_add_f64 v[82:83], v[154:155], -v[104:105]
	v_add_f64 v[104:105], v[68:69], v[112:113]
	v_fma_f64 v[54:55], v[120:121], s[14:15], v[54:55]
	v_add_f64 v[88:89], v[64:65], v[106:107]
	v_add_f64 v[120:121], v[110:111], -v[106:107]
	v_fma_f64 v[76:77], v[76:77], -0.5, v[68:69]
	v_add_f64 v[64:65], v[78:79], v[118:119]
	v_fma_f64 v[72:73], v[102:103], s[14:15], v[80:81]
	v_fma_f64 v[80:81], v[126:127], -0.5, v[68:69]
	v_fma_f64 v[68:69], v[102:103], s[14:15], v[124:125]
	v_fma_f64 v[118:119], v[134:135], s[12:13], v[132:133]
	v_fma_f64 v[124:125], v[134:135], s[4:5], v[132:133]
	v_add_f64 v[78:79], v[86:87], -v[96:97]
	v_fma_f64 v[102:103], v[90:91], s[0:1], v[128:129]
	v_add_f64 v[122:123], v[94:95], -v[116:117]
	v_fma_f64 v[126:127], v[92:93], s[4:5], v[50:51]
	v_add_f64 v[106:107], v[106:107], -v[110:111]
	v_add_f64 v[110:111], v[116:117], -v[94:95]
	v_add_f64 v[128:129], v[70:71], v[38:39]
	v_fma_f64 v[74:75], v[74:75], -0.5, v[70:71]
	v_add_f64 v[132:133], v[112:113], -v[98:99]
	v_fma_f64 v[50:51], v[92:93], s[12:13], v[50:51]
	v_add_f64 v[82:83], v[82:83], v[100:101]
	v_fma_f64 v[66:67], v[90:91], s[2:3], v[66:67]
	v_add_f64 v[90:91], v[104:105], v[108:109]
	v_add_f64 v[88:89], v[88:89], v[116:117]
	v_add_f64 v[104:105], v[112:113], -v[108:109]
	v_fma_f64 v[100:101], v[114:115], s[4:5], v[76:77]
	v_add_f64 v[116:117], v[98:99], -v[84:85]
	v_fma_f64 v[76:77], v[114:115], s[12:13], v[76:77]
	v_add_f64 v[112:113], v[108:109], -v[112:113]
	v_add_f64 v[108:109], v[108:109], -v[84:85]
	v_fma_f64 v[118:119], v[92:93], s[2:3], v[118:119]
	v_fma_f64 v[92:93], v[92:93], s[0:1], v[124:125]
	v_add_f64 v[124:125], v[32:33], v[34:35]
	v_fma_f64 v[138:139], v[78:79], s[12:13], v[80:81]
	v_add_f64 v[120:121], v[120:121], v[122:123]
	v_fma_f64 v[122:123], v[78:79], s[4:5], v[80:81]
	v_fma_f64 v[126:127], v[134:135], s[2:3], v[126:127]
	v_add_f64 v[106:107], v[106:107], v[110:111]
	v_add_f64 v[110:111], v[128:129], v[86:87]
	v_add_f64 v[38:39], v[86:87], -v[38:39]
	v_fma_f64 v[128:129], v[132:133], s[12:13], v[74:75]
	v_fma_f64 v[50:51], v[134:135], s[0:1], v[50:51]
	v_add_f64 v[134:135], v[16:17], v[10:11]
	v_fma_f64 v[80:81], v[82:83], s[14:15], v[66:67]
	v_add_f64 v[84:85], v[90:91], v[84:85]
	v_add_f64 v[66:67], v[88:89], v[94:95]
	s_waitcnt lgkmcnt(0)
	v_add_f64 v[94:95], v[4:5], v[16:17]
	v_fma_f64 v[90:91], v[78:79], s[0:1], v[100:101]
	v_add_f64 v[100:101], v[104:105], v[116:117]
	v_fma_f64 v[104:105], v[132:133], s[4:5], v[74:75]
	v_fma_f64 v[116:117], v[136:137], -0.5, v[70:71]
	v_fma_f64 v[136:137], v[78:79], s[2:3], v[76:77]
	v_fma_f64 v[76:77], v[82:83], s[14:15], v[102:103]
	v_add_f64 v[112:113], v[112:113], v[140:141]
	v_fma_f64 v[102:103], v[124:125], -0.5, v[4:5]
	v_add_f64 v[124:125], v[14:15], -v[8:9]
	v_fma_f64 v[74:75], v[120:121], s[14:15], v[118:119]
	v_fma_f64 v[70:71], v[120:121], s[14:15], v[92:93]
	v_add_f64 v[120:121], v[142:143], v[144:145]
	v_fma_f64 v[138:139], v[114:115], s[0:1], v[138:139]
	v_add_f64 v[110:111], v[110:111], v[96:97]
	v_add_f64 v[96:97], v[96:97], -v[130:131]
	v_fma_f64 v[118:119], v[108:109], s[2:3], v[128:129]
	v_fma_f64 v[82:83], v[106:107], s[14:15], v[50:51]
	;; [unrolled: 1-line block ×3, first 2 shown]
	v_add_f64 v[122:123], v[18:19], -v[12:13]
	v_add_f64 v[84:85], v[84:85], v[98:99]
	v_fma_f64 v[128:129], v[134:135], -0.5, v[4:5]
	v_fma_f64 v[78:79], v[106:107], s[14:15], v[126:127]
	v_add_f64 v[106:107], v[94:95], v[32:33]
	v_fma_f64 v[88:89], v[100:101], s[14:15], v[90:91]
	v_fma_f64 v[50:51], v[108:109], s[0:1], v[104:105]
	;; [unrolled: 1-line block ×4, first 2 shown]
	v_add_f64 v[100:101], v[18:19], v[12:13]
	v_fma_f64 v[104:105], v[108:109], s[12:13], v[116:117]
	v_add_f64 v[116:117], v[14:15], v[8:9]
	v_fma_f64 v[108:109], v[124:125], s[4:5], v[102:103]
	v_fma_f64 v[102:103], v[124:125], s[12:13], v[102:103]
	v_add_f64 v[126:127], v[16:17], -v[32:33]
	v_add_f64 v[134:135], v[10:11], -v[34:35]
	v_fma_f64 v[4:5], v[112:113], s[14:15], v[138:139]
	v_add_f64 v[86:87], v[110:111], v[130:131]
	v_add_f64 v[110:111], v[40:41], v[26:27]
	v_add_f64 v[130:131], v[32:33], -v[16:17]
	v_add_f64 v[136:137], v[30:31], v[28:29]
	v_add_f64 v[138:139], v[34:35], -v[10:11]
	v_add_f64 v[38:39], v[38:39], v[96:97]
	v_add_f64 v[96:97], v[22:23], v[24:25]
	v_fma_f64 v[90:91], v[120:121], s[14:15], v[118:119]
	v_add_f64 v[16:17], v[16:17], -v[10:11]
	v_add_f64 v[32:33], v[32:33], -v[34:35]
	v_fma_f64 v[118:119], v[122:123], s[12:13], v[128:129]
	v_fma_f64 v[94:95], v[120:121], s[14:15], v[50:51]
	;; [unrolled: 1-line block ×3, first 2 shown]
	v_add_f64 v[98:99], v[36:37], v[20:21]
	v_add_f64 v[120:121], v[6:7], v[14:15]
	v_fma_f64 v[100:101], v[100:101], -0.5, v[6:7]
	v_fma_f64 v[6:7], v[116:117], -0.5, v[6:7]
	v_add_f64 v[106:107], v[106:107], v[34:35]
	v_fma_f64 v[34:35], v[122:123], s[0:1], v[108:109]
	v_add_f64 v[116:117], v[0:1], v[30:31]
	v_fma_f64 v[102:103], v[122:123], s[2:3], v[102:103]
	v_fma_f64 v[122:123], v[122:123], s[4:5], v[128:129]
	v_add_f64 v[128:129], v[2:3], v[22:23]
	v_add_f64 v[108:109], v[126:127], v[134:135]
	v_fma_f64 v[110:111], v[110:111], -0.5, v[0:1]
	v_add_f64 v[126:127], v[22:23], -v[24:25]
	v_add_f64 v[134:135], v[30:31], -v[28:29]
	v_fma_f64 v[104:105], v[132:133], s[0:1], v[104:105]
	v_add_f64 v[132:133], v[36:37], -v[20:21]
	v_fma_f64 v[0:1], v[136:137], -0.5, v[0:1]
	v_add_f64 v[130:131], v[130:131], v[138:139]
	v_add_f64 v[138:139], v[40:41], -v[26:27]
	v_add_f64 v[140:141], v[8:9], -v[12:13]
	;; [unrolled: 1-line block ×3, first 2 shown]
	v_fma_f64 v[118:119], v[124:125], s[0:1], v[118:119]
	v_fma_f64 v[98:99], v[98:99], -0.5, v[2:3]
	v_fma_f64 v[2:3], v[96:97], -0.5, v[2:3]
	v_add_f64 v[120:121], v[120:121], v[18:19]
	v_fma_f64 v[136:137], v[16:17], s[12:13], v[100:101]
	v_add_f64 v[96:97], v[14:15], -v[18:19]
	v_fma_f64 v[100:101], v[16:17], s[4:5], v[100:101]
	v_fma_f64 v[142:143], v[32:33], s[4:5], v[6:7]
	v_add_f64 v[14:15], v[18:19], -v[14:15]
	v_add_f64 v[18:19], v[12:13], -v[8:9]
	v_fma_f64 v[6:7], v[32:33], s[12:13], v[6:7]
	v_add_f64 v[116:117], v[116:117], v[40:41]
	v_add_f64 v[128:129], v[128:129], v[36:37]
	v_fma_f64 v[144:145], v[126:127], s[4:5], v[110:111]
	v_fma_f64 v[110:111], v[126:127], s[12:13], v[110:111]
	v_add_f64 v[30:31], v[40:41], -v[30:31]
	v_add_f64 v[40:41], v[26:27], -v[28:29]
	v_fma_f64 v[152:153], v[132:133], s[12:13], v[0:1]
	v_fma_f64 v[154:155], v[132:133], s[4:5], v[0:1]
	v_add_f64 v[22:23], v[36:37], -v[22:23]
	v_fma_f64 v[122:123], v[124:125], s[2:3], v[122:123]
	v_add_f64 v[124:125], v[20:21], -v[24:25]
	v_fma_f64 v[0:1], v[112:113], s[14:15], v[114:115]
	v_fma_f64 v[156:157], v[134:135], s[12:13], v[98:99]
	;; [unrolled: 1-line block ×5, first 2 shown]
	v_add_f64 v[12:13], v[120:121], v[12:13]
	v_fma_f64 v[112:113], v[32:33], s[2:3], v[136:137]
	v_add_f64 v[96:97], v[96:97], v[140:141]
	v_fma_f64 v[32:33], v[32:33], s[0:1], v[100:101]
	v_fma_f64 v[100:101], v[16:17], s[2:3], v[142:143]
	v_add_f64 v[114:115], v[14:15], v[18:19]
	v_fma_f64 v[120:121], v[16:17], s[0:1], v[6:7]
	v_add_f64 v[26:27], v[116:117], v[26:27]
	v_add_f64 v[128:129], v[128:129], v[20:21]
	v_fma_f64 v[116:117], v[132:133], s[0:1], v[144:145]
	v_add_f64 v[136:137], v[146:147], v[150:151]
	v_add_f64 v[142:143], v[158:159], v[160:161]
	v_fma_f64 v[110:111], v[132:133], s[2:3], v[110:111]
	v_fma_f64 v[132:133], v[126:127], s[0:1], v[152:153]
	v_add_f64 v[40:41], v[30:31], v[40:41]
	v_fma_f64 v[126:127], v[126:127], s[2:3], v[154:155]
	v_add_f64 v[124:125], v[22:23], v[124:125]
	v_fma_f64 v[6:7], v[38:39], s[14:15], v[50:51]
	v_fma_f64 v[140:141], v[138:139], s[2:3], v[156:157]
	;; [unrolled: 1-line block ×6, first 2 shown]
	v_add_f64 v[10:11], v[106:107], v[10:11]
	v_add_f64 v[12:13], v[12:13], v[8:9]
	v_fma_f64 v[14:15], v[108:109], s[14:15], v[34:35]
	v_fma_f64 v[16:17], v[96:97], s[14:15], v[112:113]
	;; [unrolled: 1-line block ×8, first 2 shown]
	v_add_f64 v[22:23], v[26:27], v[28:29]
	v_add_f64 v[24:25], v[128:129], v[24:25]
	v_fma_f64 v[26:27], v[136:137], s[14:15], v[116:117]
	v_fma_f64 v[38:39], v[136:137], s[14:15], v[110:111]
	;; [unrolled: 1-line block ×4, first 2 shown]
	s_mov_b32 s2, 0x5a912e32
	v_fma_f64 v[28:29], v[142:143], s[14:15], v[140:141]
	v_fma_f64 v[40:41], v[142:143], s[14:15], v[98:99]
	;; [unrolled: 1-line block ×4, first 2 shown]
	ds_write_b128 v148, v[42:45]
	ds_write_b128 v148, v[46:49] offset:7200
	ds_write_b128 v148, v[56:59] offset:14400
	;; [unrolled: 1-line block ×24, first 2 shown]
	s_waitcnt lgkmcnt(0)
	s_barrier
	buffer_gl0_inv
	ds_read_b128 v[0:3], v148
	s_clause 0x3
	buffer_load_dword v16, off, s[24:27], 0 offset:384
	buffer_load_dword v17, off, s[24:27], 0 offset:388
	;; [unrolled: 1-line block ×4, first 2 shown]
	ds_read_b128 v[8:11], v148 offset:3600
	s_clause 0x2
	buffer_load_dword v12, off, s[24:27], 0 offset:328
	buffer_load_dword v13, off, s[24:27], 0 offset:332
	buffer_load_dword v15, off, s[24:27], 0
	s_mov_b32 s3, 0x3f3d208a
	s_mul_hi_u32 s1, s8, 0xe1
	s_waitcnt vmcnt(3) lgkmcnt(1)
	v_mul_f64 v[4:5], v[18:19], v[2:3]
	v_mul_f64 v[6:7], v[18:19], v[0:1]
	s_waitcnt vmcnt(2)
	v_mov_b32_e32 v14, v12
	s_waitcnt vmcnt(0)
	v_mad_u64_u32 v[12:13], null, s8, v15, 0
	v_mad_u64_u32 v[18:19], null, s10, v14, 0
	v_fma_f64 v[20:21], v[16:17], v[0:1], v[4:5]
	v_mov_b32_e32 v4, v19
	v_fma_f64 v[22:23], v[16:17], v[2:3], -v[6:7]
	ds_read_b128 v[0:3], v148 offset:7200
	s_clause 0x3
	buffer_load_dword v48, off, s[24:27], 0 offset:168
	buffer_load_dword v49, off, s[24:27], 0 offset:172
	;; [unrolled: 1-line block ×4, first 2 shown]
	ds_read_b128 v[24:27], v148 offset:33840
	v_mad_u64_u32 v[28:29], null, s11, v14, v[4:5]
	ds_read_b128 v[4:7], v148 offset:10800
	v_mad_u64_u32 v[13:14], null, s9, v15, v[13:14]
	v_mov_b32_e32 v19, v28
	ds_read_b128 v[28:31], v148 offset:1440
	s_clause 0x3
	buffer_load_dword v52, off, s[24:27], 0 offset:136
	buffer_load_dword v53, off, s[24:27], 0 offset:140
	;; [unrolled: 1-line block ×4, first 2 shown]
	ds_read_b128 v[32:35], v148 offset:5040
	v_lshlrev_b64 v[12:13], 4, v[12:13]
	v_lshlrev_b64 v[36:37], 4, v[18:19]
	v_mul_f64 v[20:21], v[20:21], s[2:3]
	v_mul_f64 v[22:23], v[22:23], s[2:3]
	s_waitcnt vmcnt(4) lgkmcnt(5)
	v_mul_f64 v[16:17], v[50:51], v[10:11]
	v_mul_f64 v[14:15], v[50:51], v[8:9]
	s_waitcnt vmcnt(0) lgkmcnt(4)
	v_mul_f64 v[38:39], v[54:55], v[2:3]
	v_mul_f64 v[40:41], v[54:55], v[0:1]
	s_clause 0x3
	buffer_load_dword v54, off, s[24:27], 0 offset:152
	buffer_load_dword v55, off, s[24:27], 0 offset:156
	;; [unrolled: 1-line block ×4, first 2 shown]
	v_fma_f64 v[46:47], v[48:49], v[8:9], v[16:17]
	v_add_co_u32 v8, s0, s6, v36
	v_add_co_ci_u32_e64 v9, s0, s7, v37, s0
	v_fma_f64 v[36:37], v[48:49], v[10:11], -v[14:15]
	v_add_co_u32 v48, s0, v8, v12
	v_add_co_ci_u32_e64 v49, s0, v9, v13, s0
	ds_read_b128 v[16:19], v148 offset:14400
	ds_read_b128 v[8:11], v148 offset:8640
	;; [unrolled: 1-line block ×3, first 2 shown]
	v_fma_f64 v[50:51], v[52:53], v[0:1], v[38:39]
	global_store_dwordx4 v[48:49], v[20:23], off
	v_fma_f64 v[52:53], v[52:53], v[2:3], -v[40:41]
	ds_read_b128 v[0:3], v148 offset:12240
	s_clause 0x3
	buffer_load_dword v66, off, s[24:27], 0 offset:120
	buffer_load_dword v67, off, s[24:27], 0 offset:124
	;; [unrolled: 1-line block ×4, first 2 shown]
	ds_read_b128 v[20:23], v148 offset:21600
	s_mul_i32 s0, s9, 0xe1
	s_add_i32 s1, s1, s0
	s_mul_i32 s0, s8, 0xe1
	s_lshl_b64 s[4:5], s[0:1], 4
	s_mul_i32 s1, s9, 0xfffff871
	v_add_co_u32 v72, s0, v48, s4
	v_add_co_ci_u32_e64 v73, s0, s5, v49, s0
	v_add_co_u32 v88, s0, v72, s4
	v_add_co_ci_u32_e64 v89, s0, s5, v73, s0
	s_waitcnt vmcnt(4) lgkmcnt(7)
	v_mul_f64 v[42:43], v[56:57], v[6:7]
	v_mul_f64 v[44:45], v[56:57], v[4:5]
	v_fma_f64 v[56:57], v[54:55], v[4:5], v[42:43]
	v_fma_f64 v[58:59], v[54:55], v[6:7], -v[44:45]
	v_mul_f64 v[6:7], v[36:37], s[2:3]
	ds_read_b128 v[36:39], v148 offset:25200
	ds_read_b128 v[40:43], v148 offset:15840
	s_clause 0x3
	buffer_load_dword v106, off, s[24:27], 0 offset:104
	buffer_load_dword v107, off, s[24:27], 0 offset:108
	;; [unrolled: 1-line block ×4, first 2 shown]
	s_waitcnt vmcnt(4) lgkmcnt(6)
	v_mul_f64 v[60:61], v[68:69], v[18:19]
	v_mul_f64 v[62:63], v[68:69], v[16:17]
	;; [unrolled: 1-line block ×4, first 2 shown]
	ds_read_b128 v[48:51], v148 offset:28800
	v_mul_f64 v[46:47], v[52:53], s[2:3]
	ds_read_b128 v[52:55], v148 offset:32400
	v_mul_f64 v[56:57], v[56:57], s[2:3]
	v_mul_f64 v[58:59], v[58:59], s[2:3]
	v_fma_f64 v[76:77], v[66:67], v[16:17], v[60:61]
	v_fma_f64 v[78:79], v[66:67], v[18:19], -v[62:63]
	ds_read_b128 v[16:19], v148 offset:19440
	s_clause 0x3
	buffer_load_dword v102, off, s[24:27], 0 offset:88
	buffer_load_dword v103, off, s[24:27], 0 offset:92
	;; [unrolled: 1-line block ×4, first 2 shown]
	ds_read_b128 v[60:63], v148 offset:23040
	s_clause 0x3
	buffer_load_dword v98, off, s[24:27], 0 offset:72
	buffer_load_dword v99, off, s[24:27], 0 offset:76
	;; [unrolled: 1-line block ×4, first 2 shown]
	s_waitcnt vmcnt(8) lgkmcnt(8)
	v_mul_f64 v[64:65], v[108:109], v[14:15]
	v_mul_f64 v[74:75], v[108:109], v[12:13]
	v_fma_f64 v[12:13], v[106:107], v[12:13], v[64:65]
	ds_read_b128 v[64:67], v148 offset:26640
	s_clause 0x3
	buffer_load_dword v108, off, s[24:27], 0 offset:184
	buffer_load_dword v109, off, s[24:27], 0 offset:188
	buffer_load_dword v110, off, s[24:27], 0 offset:192
	buffer_load_dword v111, off, s[24:27], 0 offset:196
	ds_read_b128 v[68:71], v148 offset:30240
	s_waitcnt vmcnt(8) lgkmcnt(8)
	v_mul_f64 v[80:81], v[104:105], v[22:23]
	v_fma_f64 v[14:15], v[106:107], v[14:15], -v[74:75]
	v_add_co_u32 v74, s0, v88, s4
	v_add_co_ci_u32_e64 v75, s0, s5, v89, s0
	v_mul_f64 v[82:83], v[104:105], v[20:21]
	s_waitcnt vmcnt(4) lgkmcnt(7)
	v_mul_f64 v[84:85], v[100:101], v[38:39]
	v_mul_f64 v[86:87], v[100:101], v[36:37]
	;; [unrolled: 1-line block ×3, first 2 shown]
	v_fma_f64 v[20:21], v[102:103], v[20:21], v[80:81]
	v_mul_f64 v[14:15], v[14:15], s[2:3]
	v_fma_f64 v[22:23], v[102:103], v[22:23], -v[82:83]
	v_fma_f64 v[36:37], v[98:99], v[36:37], v[84:85]
	v_fma_f64 v[38:39], v[98:99], v[38:39], -v[86:87]
	v_mul_f64 v[20:21], v[20:21], s[2:3]
	v_mul_f64 v[22:23], v[22:23], s[2:3]
	;; [unrolled: 1-line block ×4, first 2 shown]
	s_waitcnt vmcnt(0) lgkmcnt(5)
	v_mul_f64 v[90:91], v[110:111], v[50:51]
	v_mul_f64 v[92:93], v[110:111], v[48:49]
	s_clause 0x3
	buffer_load_dword v110, off, s[24:27], 0 offset:216
	buffer_load_dword v111, off, s[24:27], 0 offset:220
	;; [unrolled: 1-line block ×4, first 2 shown]
	global_store_dwordx4 v[72:73], v[4:7], off
	global_store_dwordx4 v[88:89], v[44:47], off
	;; [unrolled: 1-line block ×3, first 2 shown]
	v_mul_f64 v[6:7], v[78:79], s[2:3]
	s_clause 0x3
	buffer_load_dword v78, off, s[24:27], 0 offset:200
	buffer_load_dword v79, off, s[24:27], 0 offset:204
	;; [unrolled: 1-line block ×4, first 2 shown]
	v_mul_f64 v[4:5], v[76:77], s[2:3]
	v_add_co_u32 v56, s0, v74, s4
	v_add_co_ci_u32_e64 v57, s0, s5, v75, s0
	v_fma_f64 v[44:45], v[108:109], v[48:49], v[90:91]
	v_fma_f64 v[46:47], v[108:109], v[50:51], -v[92:93]
	v_mul_f64 v[44:45], v[44:45], s[2:3]
	v_mul_f64 v[46:47], v[46:47], s[2:3]
	s_waitcnt vmcnt(4) lgkmcnt(4)
	v_mul_f64 v[94:95], v[112:113], v[54:55]
	v_mul_f64 v[96:97], v[112:113], v[52:53]
	s_waitcnt vmcnt(0)
	v_mul_f64 v[58:59], v[80:81], v[28:29]
	v_fma_f64 v[48:49], v[110:111], v[52:53], v[94:95]
	v_mul_f64 v[52:53], v[80:81], v[30:31]
	s_clause 0x3
	buffer_load_dword v80, off, s[24:27], 0 offset:232
	buffer_load_dword v81, off, s[24:27], 0 offset:236
	;; [unrolled: 1-line block ×4, first 2 shown]
	v_fma_f64 v[50:51], v[110:111], v[54:55], -v[96:97]
	v_add_co_u32 v54, s0, v56, s4
	v_add_co_ci_u32_e64 v55, s0, s5, v57, s0
	global_store_dwordx4 v[56:57], v[4:7], off
	v_add_co_u32 v72, s0, v54, s4
	global_store_dwordx4 v[54:55], v[12:15], off
	v_add_co_ci_u32_e64 v73, s0, s5, v55, s0
	s_clause 0x3
	buffer_load_dword v54, off, s[24:27], 0 offset:280
	buffer_load_dword v55, off, s[24:27], 0 offset:284
	;; [unrolled: 1-line block ×4, first 2 shown]
	v_fma_f64 v[6:7], v[78:79], v[30:31], -v[58:59]
	v_mul_f64 v[48:49], v[48:49], s[2:3]
	v_fma_f64 v[28:29], v[78:79], v[28:29], v[52:53]
	v_add_co_u32 v52, s0, v72, s4
	v_mul_f64 v[50:51], v[50:51], s[2:3]
	v_add_co_ci_u32_e64 v53, s0, s5, v73, s0
	v_add_co_u32 v4, s0, v52, s4
	v_add_co_ci_u32_e64 v5, s0, s5, v53, s0
	v_add_co_u32 v12, s0, v4, s4
	v_add_co_ci_u32_e64 v13, s0, s5, v5, s0
	global_store_dwordx4 v[72:73], v[20:23], off
	global_store_dwordx4 v[52:53], v[36:39], off
	;; [unrolled: 1-line block ×4, first 2 shown]
	s_clause 0x3
	buffer_load_dword v44, off, s[24:27], 0 offset:264
	buffer_load_dword v45, off, s[24:27], 0 offset:268
	;; [unrolled: 1-line block ×4, first 2 shown]
	s_mul_hi_u32 s0, s8, 0xfffff871
	v_mul_f64 v[4:5], v[28:29], s[2:3]
	s_sub_i32 s0, s0, s8
	v_mul_f64 v[6:7], v[6:7], s[2:3]
	s_add_i32 s1, s0, s1
	s_mul_i32 s0, s8, 0xfffff871
	s_lshl_b64 s[6:7], s[0:1], 4
	v_add_co_u32 v28, s0, v12, s6
	v_add_co_ci_u32_e64 v29, s0, s7, v13, s0
	s_waitcnt vmcnt(8)
	v_mul_f64 v[74:75], v[82:83], v[34:35]
	v_mul_f64 v[76:77], v[82:83], v[32:33]
	v_fma_f64 v[14:15], v[80:81], v[32:33], v[74:75]
	v_fma_f64 v[30:31], v[80:81], v[34:35], -v[76:77]
	s_clause 0x7
	buffer_load_dword v72, off, s[24:27], 0 offset:248
	buffer_load_dword v73, off, s[24:27], 0 offset:252
	;; [unrolled: 1-line block ×8, first 2 shown]
	s_waitcnt vmcnt(12)
	v_mul_f64 v[32:33], v[56:57], v[10:11]
	v_mul_f64 v[34:35], v[56:57], v[8:9]
	v_mul_f64 v[12:13], v[14:15], s[2:3]
	v_mul_f64 v[14:15], v[30:31], s[2:3]
	s_waitcnt vmcnt(8)
	v_mul_f64 v[20:21], v[46:47], v[2:3]
	v_mul_f64 v[22:23], v[46:47], v[0:1]
	v_fma_f64 v[8:9], v[54:55], v[8:9], v[32:33]
	v_fma_f64 v[10:11], v[54:55], v[10:11], -v[34:35]
	v_add_co_u32 v34, s0, v28, s4
	v_add_co_ci_u32_e64 v35, s0, s5, v29, s0
	v_fma_f64 v[20:21], v[44:45], v[0:1], v[20:21]
	v_fma_f64 v[22:23], v[44:45], v[2:3], -v[22:23]
	v_mul_f64 v[0:1], v[8:9], s[2:3]
	v_mul_f64 v[2:3], v[10:11], s[2:3]
	s_waitcnt vmcnt(4)
	v_mul_f64 v[30:31], v[74:75], v[42:43]
	v_mul_f64 v[32:33], v[74:75], v[40:41]
	s_waitcnt vmcnt(0) lgkmcnt(3)
	v_mul_f64 v[36:37], v[80:81], v[18:19]
	v_mul_f64 v[38:39], v[80:81], v[16:17]
	s_clause 0x7
	buffer_load_dword v74, off, s[24:27], 0 offset:296
	buffer_load_dword v75, off, s[24:27], 0 offset:300
	;; [unrolled: 1-line block ×8, first 2 shown]
	v_fma_f64 v[8:9], v[72:73], v[40:41], v[30:31]
	v_fma_f64 v[10:11], v[72:73], v[42:43], -v[32:33]
	v_add_co_u32 v32, s0, v34, s4
	v_add_co_ci_u32_e64 v33, s0, s5, v35, s0
	v_mul_f64 v[8:9], v[8:9], s[2:3]
	v_mul_f64 v[10:11], v[10:11], s[2:3]
	s_waitcnt vmcnt(4) lgkmcnt(2)
	v_mul_f64 v[44:45], v[76:77], v[62:63]
	s_waitcnt vmcnt(0) lgkmcnt(1)
	v_mul_f64 v[48:49], v[82:83], v[66:67]
	v_mul_f64 v[50:51], v[82:83], v[64:65]
	s_clause 0x3
	buffer_load_dword v82, off, s[24:27], 0 offset:352
	buffer_load_dword v83, off, s[24:27], 0 offset:356
	;; [unrolled: 1-line block ×4, first 2 shown]
	v_mul_f64 v[46:47], v[76:77], v[60:61]
	s_waitcnt vmcnt(0) lgkmcnt(0)
	v_mul_f64 v[52:53], v[84:85], v[70:71]
	v_mul_f64 v[54:55], v[84:85], v[68:69]
	s_clause 0x3
	buffer_load_dword v84, off, s[24:27], 0 offset:368
	buffer_load_dword v85, off, s[24:27], 0 offset:372
	;; [unrolled: 1-line block ×4, first 2 shown]
	global_store_dwordx4 v[28:29], v[4:7], off
	global_store_dwordx4 v[34:35], v[12:15], off
	v_fma_f64 v[12:13], v[78:79], v[16:17], v[36:37]
	v_fma_f64 v[14:15], v[78:79], v[18:19], -v[38:39]
	v_fma_f64 v[16:17], v[74:75], v[60:61], v[44:45]
	v_fma_f64 v[18:19], v[74:75], v[62:63], -v[46:47]
	v_mul_f64 v[4:5], v[20:21], s[2:3]
	v_mul_f64 v[6:7], v[22:23], s[2:3]
	v_fma_f64 v[20:21], v[80:81], v[64:65], v[48:49]
	v_fma_f64 v[22:23], v[80:81], v[66:67], -v[50:51]
	v_add_co_u32 v38, s0, v32, s4
	v_add_co_ci_u32_e64 v39, s0, s5, v33, s0
	global_store_dwordx4 v[32:33], v[0:3], off
	v_add_co_u32 v40, s0, v38, s4
	v_add_co_ci_u32_e64 v41, s0, s5, v39, s0
	v_fma_f64 v[28:29], v[82:83], v[68:69], v[52:53]
	v_fma_f64 v[30:31], v[82:83], v[70:71], -v[54:55]
	v_add_co_u32 v42, s0, v40, s4
	v_add_co_ci_u32_e64 v43, s0, s5, v41, s0
	v_mul_f64 v[12:13], v[12:13], s[2:3]
	v_mul_f64 v[14:15], v[14:15], s[2:3]
	;; [unrolled: 1-line block ×6, first 2 shown]
	global_store_dwordx4 v[38:39], v[4:7], off
	global_store_dwordx4 v[40:41], v[8:11], off
	s_waitcnt vmcnt(0)
	v_mul_f64 v[56:57], v[86:87], v[26:27]
	v_mul_f64 v[58:59], v[86:87], v[24:25]
	v_fma_f64 v[34:35], v[84:85], v[24:25], v[56:57]
	v_fma_f64 v[36:37], v[84:85], v[26:27], -v[58:59]
	v_mul_f64 v[24:25], v[28:29], s[2:3]
	v_mul_f64 v[26:27], v[30:31], s[2:3]
	;; [unrolled: 1-line block ×3, first 2 shown]
	v_add_co_u32 v34, s0, v42, s4
	v_add_co_ci_u32_e64 v35, s0, s5, v43, s0
	v_mul_f64 v[30:31], v[36:37], s[2:3]
	v_add_co_u32 v2, s0, v34, s4
	v_add_co_ci_u32_e64 v3, s0, s5, v35, s0
	v_add_co_u32 v4, s0, v2, s4
	v_add_co_ci_u32_e64 v5, s0, s5, v3, s0
	v_add_co_u32 v0, s0, v4, s4
	v_add_co_ci_u32_e64 v1, s0, s5, v5, s0
	global_store_dwordx4 v[42:43], v[12:15], off
	global_store_dwordx4 v[34:35], v[16:19], off
	global_store_dwordx4 v[2:3], v[20:23], off
	global_store_dwordx4 v[4:5], v[24:27], off
	global_store_dwordx4 v[0:1], v[28:31], off
	s_and_b32 exec_lo, exec_lo, vcc_lo
	s_cbranch_execz .LBB0_31
; %bb.30:
	s_clause 0x1
	buffer_load_dword v2, off, s[24:27], 0 offset:40
	buffer_load_dword v3, off, s[24:27], 0 offset:44
	s_waitcnt vmcnt(0)
	global_load_dwordx4 v[2:5], v[2:3], off offset:832
	ds_read_b128 v[6:9], v148 offset:2880
	ds_read_b128 v[10:13], v148 offset:35280
	s_waitcnt vmcnt(0) lgkmcnt(1)
	v_mul_f64 v[14:15], v[8:9], v[4:5]
	v_mul_f64 v[4:5], v[6:7], v[4:5]
	v_fma_f64 v[6:7], v[6:7], v[2:3], v[14:15]
	v_fma_f64 v[4:5], v[2:3], v[8:9], -v[4:5]
	v_add_co_u32 v8, vcc_lo, v0, s6
	v_add_co_ci_u32_e32 v9, vcc_lo, s7, v1, vcc_lo
	v_mul_f64 v[2:3], v[6:7], s[2:3]
	v_mul_f64 v[4:5], v[4:5], s[2:3]
	global_store_dwordx4 v[8:9], v[2:5], off
	s_clause 0x1
	buffer_load_dword v0, off, s[24:27], 0 offset:8
	buffer_load_dword v1, off, s[24:27], 0 offset:12
	s_waitcnt vmcnt(0)
	global_load_dwordx4 v[0:3], v[0:1], off offset:336
	ds_read_b128 v[4:7], v148 offset:6480
	ds_read_b128 v[14:17], v148 offset:10080
	s_waitcnt vmcnt(0) lgkmcnt(1)
	v_mul_f64 v[18:19], v[6:7], v[2:3]
	v_mul_f64 v[2:3], v[4:5], v[2:3]
	v_fma_f64 v[4:5], v[4:5], v[0:1], v[18:19]
	v_fma_f64 v[2:3], v[0:1], v[6:7], -v[2:3]
	v_mul_f64 v[0:1], v[4:5], s[2:3]
	v_mul_f64 v[2:3], v[2:3], s[2:3]
	v_add_co_u32 v4, vcc_lo, v8, s4
	v_add_co_ci_u32_e32 v5, vcc_lo, s5, v9, vcc_lo
	v_add_co_u32 v8, vcc_lo, v4, s4
	v_add_co_ci_u32_e32 v9, vcc_lo, s5, v5, vcc_lo
	global_store_dwordx4 v[4:5], v[0:3], off
	s_clause 0x2
	buffer_load_dword v0, off, s[24:27], 0 offset:48
	buffer_load_dword v1, off, s[24:27], 0 offset:52
	;; [unrolled: 1-line block ×3, first 2 shown]
	v_add_co_u32 v4, vcc_lo, 0x3000, v149
	s_waitcnt vmcnt(1)
	global_load_dwordx4 v[0:3], v[0:1], off offset:1888
	s_waitcnt vmcnt(1)
	v_add_co_ci_u32_e32 v5, vcc_lo, 0, v5, vcc_lo
	s_waitcnt vmcnt(0) lgkmcnt(0)
	v_mul_f64 v[6:7], v[16:17], v[2:3]
	v_mul_f64 v[2:3], v[14:15], v[2:3]
	v_fma_f64 v[6:7], v[14:15], v[0:1], v[6:7]
	v_fma_f64 v[2:3], v[0:1], v[16:17], -v[2:3]
	v_mul_f64 v[0:1], v[6:7], s[2:3]
	v_mul_f64 v[2:3], v[2:3], s[2:3]
	global_store_dwordx4 v[8:9], v[0:3], off
	global_load_dwordx4 v[0:3], v[4:5], off offset:1392
	ds_read_b128 v[4:7], v148 offset:13680
	ds_read_b128 v[14:17], v148 offset:17280
	s_waitcnt vmcnt(0) lgkmcnt(1)
	v_mul_f64 v[18:19], v[6:7], v[2:3]
	v_mul_f64 v[2:3], v[4:5], v[2:3]
	v_fma_f64 v[4:5], v[4:5], v[0:1], v[18:19]
	v_fma_f64 v[2:3], v[0:1], v[6:7], -v[2:3]
	v_mul_f64 v[0:1], v[4:5], s[2:3]
	v_mul_f64 v[2:3], v[2:3], s[2:3]
	v_add_co_u32 v4, vcc_lo, v8, s4
	v_add_co_ci_u32_e32 v5, vcc_lo, s5, v9, vcc_lo
	v_add_co_u32 v8, vcc_lo, v4, s4
	v_add_co_ci_u32_e32 v9, vcc_lo, s5, v5, vcc_lo
	global_store_dwordx4 v[4:5], v[0:3], off
	s_clause 0x1
	buffer_load_dword v0, off, s[24:27], 0 offset:16
	buffer_load_dword v1, off, s[24:27], 0 offset:20
	s_waitcnt vmcnt(0)
	global_load_dwordx4 v[0:3], v[0:1], off offset:896
	s_waitcnt vmcnt(0) lgkmcnt(0)
	v_mul_f64 v[6:7], v[16:17], v[2:3]
	v_mul_f64 v[2:3], v[14:15], v[2:3]
	v_fma_f64 v[6:7], v[14:15], v[0:1], v[6:7]
	v_fma_f64 v[2:3], v[0:1], v[16:17], -v[2:3]
	v_mul_f64 v[0:1], v[6:7], s[2:3]
	v_mul_f64 v[2:3], v[2:3], s[2:3]
	global_store_dwordx4 v[8:9], v[0:3], off
	s_clause 0x1
	buffer_load_dword v0, off, s[24:27], 0 offset:24
	buffer_load_dword v1, off, s[24:27], 0 offset:28
	s_waitcnt vmcnt(0)
	global_load_dwordx4 v[0:3], v[0:1], off offset:400
	ds_read_b128 v[4:7], v148 offset:20880
	ds_read_b128 v[14:17], v148 offset:24480
	s_waitcnt vmcnt(0) lgkmcnt(1)
	v_mul_f64 v[18:19], v[6:7], v[2:3]
	v_mul_f64 v[2:3], v[4:5], v[2:3]
	v_fma_f64 v[4:5], v[4:5], v[0:1], v[18:19]
	v_fma_f64 v[2:3], v[0:1], v[6:7], -v[2:3]
	v_mul_f64 v[0:1], v[4:5], s[2:3]
	v_mul_f64 v[2:3], v[2:3], s[2:3]
	v_add_co_u32 v4, vcc_lo, v8, s4
	v_add_co_ci_u32_e32 v5, vcc_lo, s5, v9, vcc_lo
	v_add_co_u32 v8, vcc_lo, v4, s4
	v_add_co_ci_u32_e32 v9, vcc_lo, s5, v5, vcc_lo
	global_store_dwordx4 v[4:5], v[0:3], off
	s_clause 0x1
	buffer_load_dword v0, off, s[24:27], 0 offset:56
	buffer_load_dword v1, off, s[24:27], 0 offset:60
	s_waitcnt vmcnt(0)
	global_load_dwordx4 v[0:3], v[0:1], off offset:1952
	s_waitcnt vmcnt(0) lgkmcnt(0)
	v_mul_f64 v[6:7], v[16:17], v[2:3]
	v_mul_f64 v[2:3], v[14:15], v[2:3]
	v_fma_f64 v[6:7], v[14:15], v[0:1], v[6:7]
	v_fma_f64 v[2:3], v[0:1], v[16:17], -v[2:3]
	v_mul_f64 v[0:1], v[6:7], s[2:3]
	v_mul_f64 v[2:3], v[2:3], s[2:3]
	global_store_dwordx4 v[8:9], v[0:3], off
	s_clause 0x1
	buffer_load_dword v0, off, s[24:27], 0 offset:64
	buffer_load_dword v1, off, s[24:27], 0 offset:68
	s_waitcnt vmcnt(0)
	global_load_dwordx4 v[0:3], v[0:1], off offset:1456
	ds_read_b128 v[4:7], v148 offset:28080
	ds_read_b128 v[14:17], v148 offset:31680
	s_waitcnt vmcnt(0) lgkmcnt(1)
	v_mul_f64 v[18:19], v[6:7], v[2:3]
	v_mul_f64 v[2:3], v[4:5], v[2:3]
	v_fma_f64 v[4:5], v[4:5], v[0:1], v[18:19]
	v_fma_f64 v[2:3], v[0:1], v[6:7], -v[2:3]
	v_mul_f64 v[0:1], v[4:5], s[2:3]
	v_mul_f64 v[2:3], v[2:3], s[2:3]
	v_add_co_u32 v4, vcc_lo, v8, s4
	v_add_co_ci_u32_e32 v5, vcc_lo, s5, v9, vcc_lo
	global_store_dwordx4 v[4:5], v[0:3], off
	s_clause 0x1
	buffer_load_dword v0, off, s[24:27], 0 offset:32
	buffer_load_dword v1, off, s[24:27], 0 offset:36
	v_add_co_u32 v4, vcc_lo, v4, s4
	v_add_co_ci_u32_e32 v5, vcc_lo, s5, v5, vcc_lo
	s_waitcnt vmcnt(0)
	global_load_dwordx4 v[0:3], v[0:1], off offset:960
	s_waitcnt vmcnt(0) lgkmcnt(0)
	v_mul_f64 v[6:7], v[16:17], v[2:3]
	v_mul_f64 v[2:3], v[14:15], v[2:3]
	v_fma_f64 v[6:7], v[14:15], v[0:1], v[6:7]
	v_fma_f64 v[2:3], v[0:1], v[16:17], -v[2:3]
	v_mul_f64 v[0:1], v[6:7], s[2:3]
	v_mul_f64 v[2:3], v[2:3], s[2:3]
	global_store_dwordx4 v[4:5], v[0:3], off
	s_clause 0x1
	buffer_load_dword v0, off, s[24:27], 0 offset:1392
	buffer_load_dword v1, off, s[24:27], 0 offset:1396
	v_add_co_u32 v4, vcc_lo, v4, s4
	v_add_co_ci_u32_e32 v5, vcc_lo, s5, v5, vcc_lo
	s_waitcnt vmcnt(0)
	global_load_dwordx4 v[0:3], v[0:1], off offset:464
	s_waitcnt vmcnt(0)
	v_mul_f64 v[6:7], v[12:13], v[2:3]
	v_mul_f64 v[2:3], v[10:11], v[2:3]
	v_fma_f64 v[6:7], v[10:11], v[0:1], v[6:7]
	v_fma_f64 v[2:3], v[0:1], v[12:13], -v[2:3]
	v_mul_f64 v[0:1], v[6:7], s[2:3]
	v_mul_f64 v[2:3], v[2:3], s[2:3]
	global_store_dwordx4 v[4:5], v[0:3], off
.LBB0_31:
	s_endpgm
	.section	.rodata,"a",@progbits
	.p2align	6, 0x0
	.amdhsa_kernel bluestein_single_back_len2250_dim1_dp_op_CI_CI
		.amdhsa_group_segment_fixed_size 36000
		.amdhsa_private_segment_fixed_size 1404
		.amdhsa_kernarg_size 104
		.amdhsa_user_sgpr_count 6
		.amdhsa_user_sgpr_private_segment_buffer 1
		.amdhsa_user_sgpr_dispatch_ptr 0
		.amdhsa_user_sgpr_queue_ptr 0
		.amdhsa_user_sgpr_kernarg_segment_ptr 1
		.amdhsa_user_sgpr_dispatch_id 0
		.amdhsa_user_sgpr_flat_scratch_init 0
		.amdhsa_user_sgpr_private_segment_size 0
		.amdhsa_wavefront_size32 1
		.amdhsa_uses_dynamic_stack 0
		.amdhsa_system_sgpr_private_segment_wavefront_offset 1
		.amdhsa_system_sgpr_workgroup_id_x 1
		.amdhsa_system_sgpr_workgroup_id_y 0
		.amdhsa_system_sgpr_workgroup_id_z 0
		.amdhsa_system_sgpr_workgroup_info 0
		.amdhsa_system_vgpr_workitem_id 0
		.amdhsa_next_free_vgpr 256
		.amdhsa_next_free_sgpr 28
		.amdhsa_reserve_vcc 1
		.amdhsa_reserve_flat_scratch 0
		.amdhsa_float_round_mode_32 0
		.amdhsa_float_round_mode_16_64 0
		.amdhsa_float_denorm_mode_32 3
		.amdhsa_float_denorm_mode_16_64 3
		.amdhsa_dx10_clamp 1
		.amdhsa_ieee_mode 1
		.amdhsa_fp16_overflow 0
		.amdhsa_workgroup_processor_mode 1
		.amdhsa_memory_ordered 1
		.amdhsa_forward_progress 0
		.amdhsa_shared_vgpr_count 0
		.amdhsa_exception_fp_ieee_invalid_op 0
		.amdhsa_exception_fp_denorm_src 0
		.amdhsa_exception_fp_ieee_div_zero 0
		.amdhsa_exception_fp_ieee_overflow 0
		.amdhsa_exception_fp_ieee_underflow 0
		.amdhsa_exception_fp_ieee_inexact 0
		.amdhsa_exception_int_div_zero 0
	.end_amdhsa_kernel
	.text
.Lfunc_end0:
	.size	bluestein_single_back_len2250_dim1_dp_op_CI_CI, .Lfunc_end0-bluestein_single_back_len2250_dim1_dp_op_CI_CI
                                        ; -- End function
	.section	.AMDGPU.csdata,"",@progbits
; Kernel info:
; codeLenInByte = 48280
; NumSgprs: 30
; NumVgprs: 256
; ScratchSize: 1404
; MemoryBound: 0
; FloatMode: 240
; IeeeMode: 1
; LDSByteSize: 36000 bytes/workgroup (compile time only)
; SGPRBlocks: 3
; VGPRBlocks: 31
; NumSGPRsForWavesPerEU: 30
; NumVGPRsForWavesPerEU: 256
; Occupancy: 3
; WaveLimiterHint : 1
; COMPUTE_PGM_RSRC2:SCRATCH_EN: 1
; COMPUTE_PGM_RSRC2:USER_SGPR: 6
; COMPUTE_PGM_RSRC2:TRAP_HANDLER: 0
; COMPUTE_PGM_RSRC2:TGID_X_EN: 1
; COMPUTE_PGM_RSRC2:TGID_Y_EN: 0
; COMPUTE_PGM_RSRC2:TGID_Z_EN: 0
; COMPUTE_PGM_RSRC2:TIDIG_COMP_CNT: 0
	.text
	.p2alignl 6, 3214868480
	.fill 48, 4, 3214868480
	.type	__hip_cuid_8af5b1b820574f82,@object ; @__hip_cuid_8af5b1b820574f82
	.section	.bss,"aw",@nobits
	.globl	__hip_cuid_8af5b1b820574f82
__hip_cuid_8af5b1b820574f82:
	.byte	0                               ; 0x0
	.size	__hip_cuid_8af5b1b820574f82, 1

	.ident	"AMD clang version 19.0.0git (https://github.com/RadeonOpenCompute/llvm-project roc-6.4.0 25133 c7fe45cf4b819c5991fe208aaa96edf142730f1d)"
	.section	".note.GNU-stack","",@progbits
	.addrsig
	.addrsig_sym __hip_cuid_8af5b1b820574f82
	.amdgpu_metadata
---
amdhsa.kernels:
  - .args:
      - .actual_access:  read_only
        .address_space:  global
        .offset:         0
        .size:           8
        .value_kind:     global_buffer
      - .actual_access:  read_only
        .address_space:  global
        .offset:         8
        .size:           8
        .value_kind:     global_buffer
      - .actual_access:  read_only
        .address_space:  global
        .offset:         16
        .size:           8
        .value_kind:     global_buffer
      - .actual_access:  read_only
        .address_space:  global
        .offset:         24
        .size:           8
        .value_kind:     global_buffer
      - .actual_access:  read_only
        .address_space:  global
        .offset:         32
        .size:           8
        .value_kind:     global_buffer
      - .offset:         40
        .size:           8
        .value_kind:     by_value
      - .address_space:  global
        .offset:         48
        .size:           8
        .value_kind:     global_buffer
      - .address_space:  global
        .offset:         56
        .size:           8
        .value_kind:     global_buffer
      - .address_space:  global
        .offset:         64
        .size:           8
        .value_kind:     global_buffer
      - .address_space:  global
        .offset:         72
        .size:           8
        .value_kind:     global_buffer
      - .offset:         80
        .size:           4
        .value_kind:     by_value
      - .address_space:  global
        .offset:         88
        .size:           8
        .value_kind:     global_buffer
      - .address_space:  global
        .offset:         96
        .size:           8
        .value_kind:     global_buffer
    .group_segment_fixed_size: 36000
    .kernarg_segment_align: 8
    .kernarg_segment_size: 104
    .language:       OpenCL C
    .language_version:
      - 2
      - 0
    .max_flat_workgroup_size: 90
    .name:           bluestein_single_back_len2250_dim1_dp_op_CI_CI
    .private_segment_fixed_size: 1404
    .sgpr_count:     30
    .sgpr_spill_count: 0
    .symbol:         bluestein_single_back_len2250_dim1_dp_op_CI_CI.kd
    .uniform_work_group_size: 1
    .uses_dynamic_stack: false
    .vgpr_count:     256
    .vgpr_spill_count: 350
    .wavefront_size: 32
    .workgroup_processor_mode: 1
amdhsa.target:   amdgcn-amd-amdhsa--gfx1030
amdhsa.version:
  - 1
  - 2
...

	.end_amdgpu_metadata
